;; amdgpu-corpus repo=vllm-project/vllm kind=compiled arch=gfx950 opt=O3
	.amdgcn_target "amdgcn-amd-amdhsa--gfx950"
	.amdhsa_code_object_version 6
	.text
	.protected	_ZN4vllm4gptq31reconstruct_exllama_8bit_kernelEPKjPKiS2_PK6__halfiiibPS5_ ; -- Begin function _ZN4vllm4gptq31reconstruct_exllama_8bit_kernelEPKjPKiS2_PK6__halfiiibPS5_
	.globl	_ZN4vllm4gptq31reconstruct_exllama_8bit_kernelEPKjPKiS2_PK6__halfiiibPS5_
	.p2align	8
	.type	_ZN4vllm4gptq31reconstruct_exllama_8bit_kernelEPKjPKiS2_PK6__halfiiibPS5_,@function
_ZN4vllm4gptq31reconstruct_exllama_8bit_kernelEPKjPKiS2_PK6__halfiiibPS5_: ; @_ZN4vllm4gptq31reconstruct_exllama_8bit_kernelEPKjPKiS2_PK6__halfiiibPS5_
; %bb.0:
	s_load_dwordx2 s[8:9], s[0:1], 0x8
	s_load_dwordx4 s[4:7], s[0:1], 0x20
	s_lshl_b32 s18, s3, 7
	s_waitcnt lgkmcnt(0)
	s_cmp_lg_u64 s[8:9], 0
	s_cselect_b64 s[12:13], -1, 0
	s_cmp_eq_u64 s[8:9], 0
	s_cbranch_scc1 .LBB0_4
; %bb.1:
	v_add_u32_e32 v2, s18, v0
	v_cmp_gt_u32_e32 vcc, s4, v2
	s_and_saveexec_b64 s[10:11], vcc
	s_cbranch_execz .LBB0_3
; %bb.2:
	v_mov_b32_e32 v3, 0
	v_lshl_add_u64 v[2:3], v[2:3], 2, s[8:9]
	global_load_dword v1, v[2:3], off
	v_lshlrev_b32_e32 v2, 2, v0
	s_waitcnt vmcnt(0)
	ds_write_b32 v2, v1
.LBB0_3:
	s_or_b64 exec, exec, s[10:11]
.LBB0_4:
	s_lshl_b32 s2, s2, 9
	v_lshlrev_b32_e32 v20, 2, v0
	v_add_u32_e32 v10, s2, v20
	v_cmp_gt_i32_e32 vcc, s5, v10
	s_and_saveexec_b64 s[8:9], vcc
	s_cbranch_execz .LBB0_26
; %bb.5:
	s_abs_i32 s8, s6
	v_cvt_f32_u32_e32 v0, s8
	s_sub_i32 s11, 0, s8
	s_abs_i32 s10, s4
	s_xor_b32 s6, s4, s6
	v_rcp_iflag_f32_e32 v0, v0
	s_add_i32 s9, s18, 0x80
	s_ashr_i32 s6, s6, 31
	s_waitcnt lgkmcnt(0)
	v_mul_f32_e32 v0, 0x4f7ffffe, v0
	v_cvt_u32_f32_e32 v0, v0
	s_barrier
	v_readfirstlane_b32 s14, v0
	s_mul_i32 s11, s11, s14
	s_mul_hi_u32 s11, s14, s11
	s_add_i32 s14, s14, s11
	s_mul_hi_u32 s11, s10, s14
	s_mul_i32 s14, s11, s8
	s_sub_i32 s10, s10, s14
	s_add_i32 s15, s11, 1
	s_sub_i32 s14, s10, s8
	s_cmp_ge_u32 s10, s8
	s_cselect_b32 s11, s15, s11
	s_cselect_b32 s10, s14, s10
	s_add_i32 s14, s11, 1
	s_cmp_ge_u32 s10, s8
	s_cselect_b32 s8, s14, s11
	s_xor_b32 s8, s8, s6
	s_sub_i32 s19, s8, s6
	v_cvt_f32_u32_e32 v2, s19
	v_cvt_f64_i32_e32 v[0:1], s4
	s_mov_b32 s4, 0
	v_rcp_iflag_f32_e32 v4, v2
	v_cvt_f64_u32_e32 v[2:3], s9
	v_min_f64 v[0:1], v[2:3], v[0:1]
	v_cvt_i32_f64_e32 v21, v[0:1]
	v_mul_f32_e32 v2, 0x4f7ffffe, v4
	v_cvt_u32_f32_e32 v2, v2
	v_cmp_ge_i32_e32 vcc, s18, v21
	v_readfirstlane_b32 s6, v2
	s_cbranch_vccnz .LBB0_26
; %bb.6:
	s_sub_i32 s14, 0, s19
	s_mul_i32 s14, s14, s6
	s_mul_hi_u32 s14, s6, s14
	s_add_i32 s6, s6, s14
	s_mul_hi_u32 s6, s18, s6
	s_mul_i32 s14, s6, s19
	s_sub_i32 s14, s18, s14
	s_add_i32 s15, s6, 1
	s_sub_i32 s16, s14, s19
	s_cmp_ge_u32 s14, s19
	s_cselect_b32 s6, s15, s6
	s_cselect_b32 s14, s16, s14
	s_add_i32 s15, s6, 1
	s_cmp_ge_u32 s14, s19
	s_cselect_b32 s20, s15, s6
	s_mul_i32 s6, s20, s5
	s_ashr_i32 s14, s6, 31
	s_load_dwordx4 s[8:11], s[0:1], 0x10
	s_lshr_b32 s14, s14, 30
	s_add_i32 s14, s6, s14
	s_ashr_i32 s14, s14, 2
	v_ashrrev_i32_e32 v22, 2, v10
	v_add_u32_e32 v0, s6, v10
	v_add_u32_e32 v2, s14, v22
	v_ashrrev_i32_e32 v1, 31, v0
	v_ashrrev_i32_e32 v3, 31, v2
	s_waitcnt lgkmcnt(0)
	v_lshl_add_u64 v[0:1], v[0:1], 1, s[10:11]
	v_lshl_add_u64 v[2:3], v[2:3], 2, s[8:9]
	global_load_dwordx2 v[0:1], v[0:1], off
	s_bitcmp1_b32 s7, 0
	global_load_dword v2, v[2:3], off
	s_cselect_b64 s[6:7], -1, 0
	s_load_dwordx2 s[16:17], s[0:1], 0x0
	s_load_dwordx2 s[14:15], s[0:1], 0x30
	s_lshr_b32 s1, s18, 2
	s_xor_b64 s[6:7], s[6:7], -1
	v_cndmask_b32_e64 v23, 0, 1, s[6:7]
	s_mul_i32 s6, s5, s1
	s_ashr_i32 s7, s6, 31
	s_lshl_b64 s[6:7], s[6:7], 2
	s_waitcnt lgkmcnt(0)
	s_add_u32 s6, s16, s6
	s_addc_u32 s7, s17, s7
	s_add_i32 s16, s18, 30
	s_add_i32 s25, s18, 29
	s_mul_i32 s16, s5, s16
	s_add_i32 s27, s18, 27
	s_mul_i32 s38, s5, s25
	s_add_i32 s25, s16, s2
	s_add_i32 s16, s18, 14
	;; [unrolled: 1-line block ×3, first 2 shown]
	s_mul_i32 s40, s5, s27
	s_mul_i32 s16, s5, s16
	s_add_i32 s28, s18, 25
	s_mul_i32 s42, s5, s29
	s_add_i32 s29, s40, s2
	s_add_i32 s40, s16, s2
	s_add_i32 s16, s18, 12
	s_add_i32 s30, s18, 22
	s_mul_i32 s41, s5, s28
	s_mul_i32 s16, s5, s16
	s_mul_i32 s43, s5, s30
	s_add_i32 s30, s41, s2
	s_add_i32 s41, s16, s2
	s_add_i32 s16, s18, 13
	s_add_i32 s31, s18, 20
	s_mul_i32 s16, s5, s16
	s_mul_i32 s44, s5, s31
	s_add_i32 s31, s42, s2
	s_add_i32 s42, s16, s2
	s_add_i32 s16, s18, 10
	s_add_i32 s33, s18, 21
	s_mul_i32 s16, s5, s16
	s_mul_i32 s45, s5, s33
	;; [unrolled: 6-line block ×6, first 2 shown]
	s_add_i32 s37, s47, s2
	s_add_i32 s47, s16, s2
	;; [unrolled: 1-line block ×3, first 2 shown]
	s_mul_i32 s16, s5, s16
	s_add_i32 s26, s18, 26
	s_add_i32 s27, s38, s2
	;; [unrolled: 1-line block ×5, first 2 shown]
	s_mul_i32 s39, s5, s26
	s_mul_i32 s16, s5, s16
	s_add_i32 s28, s39, s2
	s_add_i32 s39, s49, s2
	;; [unrolled: 1-line block ×4, first 2 shown]
	s_mul_i32 s3, s3, s5
	s_mul_i32 s16, s5, s16
	s_lshl_b32 s3, s3, 7
	s_add_i32 s17, s18, 28
	s_add_i32 s50, s16, s2
	s_add_i32 s16, s18, 3
	s_add_i32 s52, s3, s2
	s_add_i32 s3, s18, 1
	s_mov_b32 s21, 0x10001
	v_ashrrev_i32_e32 v11, 31, v10
	s_mov_b32 s0, s5
	s_ashr_i32 s1, s5, 31
	s_mul_i32 s17, s5, s17
	s_mul_i32 s16, s5, s16
	;; [unrolled: 1-line block ×3, first 2 shown]
	s_mov_b32 s22, s5
	v_mov_b32_e32 v13, v10
	s_add_i32 s23, s19, s18
	s_lshl_b32 s24, s5, 5
	v_lshl_add_u64 v[14:15], v[10:11], 2, s[6:7]
	s_lshl_b64 s[6:7], s[0:1], 5
	s_add_i32 s26, s17, s2
	s_waitcnt vmcnt(1)
	v_mul_u32_u24_sdwa v27, v1, s21 dst_sel:DWORD dst_unused:UNUSED_PAD src0_sel:WORD_1 src1_sel:DWORD
	v_mul_u32_u24_sdwa v24, v1, s21 dst_sel:DWORD dst_unused:UNUSED_PAD src0_sel:WORD_0 src1_sel:DWORD
	v_mul_u32_u24_sdwa v25, v0, s21 dst_sel:DWORD dst_unused:UNUSED_PAD src0_sel:WORD_1 src1_sel:DWORD
	v_mul_u32_u24_sdwa v26, v0, s21 dst_sel:DWORD dst_unused:UNUSED_PAD src0_sel:WORD_0 src1_sel:DWORD
	s_waitcnt vmcnt(0)
	v_and_b32_e32 v28, 0xff, v2
	v_bfe_u32 v29, v2, 8, 8
	v_bfe_u32 v30, v2, 16, 8
	v_lshrrev_b32_e32 v31, 24, v2
	s_add_i32 s51, s16, s2
	s_add_i32 s53, s3, s2
	s_lshl_b64 s[2:3], s[0:1], 2
	v_cndmask_b32_e64 v32, 0, 1, s[12:13]
	s_branch .LBB0_8
.LBB0_7:                                ;   in Loop: Header=BB0_8 Depth=1
	v_mul_lo_u32 v0, v3, s5
	v_add_u32_e32 v0, v0, v10
	s_add_i32 s18, s18, 32
	v_and_b32_e32 v2, 0xffff0000, v7
	v_and_b32_e32 v6, 0xffff0000, v6
	v_ashrrev_i32_e32 v1, 31, v0
	v_cmp_lt_i32_e32 vcc, s18, v21
	v_lshl_add_u64 v[0:1], v[0:1], 1, s[14:15]
	v_or_b32_sdwa v3, v2, v5 dst_sel:DWORD dst_unused:UNUSED_PAD src0_sel:DWORD src1_sel:WORD_1
	v_or_b32_sdwa v2, v6, v4 dst_sel:DWORD dst_unused:UNUSED_PAD src0_sel:DWORD src1_sel:WORD_1
	v_lshl_add_u64 v[14:15], v[14:15], 0, s[6:7]
	s_addk_i32 s4, 0x80
	s_add_i32 s25, s25, s24
	s_add_i32 s26, s26, s24
	;; [unrolled: 1-line block ×28, first 2 shown]
	global_store_dwordx2 v[0:1], v[2:3], off
	s_cbranch_vccz .LBB0_26
.LBB0_8:                                ; =>This Inner Loop Header: Depth=1
	s_cmp_lg_u32 s18, s23
	s_cbranch_scc1 .LBB0_10
; %bb.9:                                ;   in Loop: Header=BB0_8 Depth=1
	s_add_i32 s20, s20, 1
	s_mul_i32 s0, s20, s5
	s_ashr_i32 s1, s0, 31
	s_lshr_b32 s1, s1, 30
	s_add_i32 s1, s0, s1
	s_ashr_i32 s1, s1, 2
	v_add_u32_e32 v0, s1, v22
	v_add_u32_e32 v2, s0, v10
	v_ashrrev_i32_e32 v3, 31, v2
	v_ashrrev_i32_e32 v1, 31, v0
	v_lshl_add_u64 v[2:3], v[2:3], 1, s[10:11]
	v_lshl_add_u64 v[0:1], v[0:1], 2, s[8:9]
	global_load_dwordx2 v[2:3], v[2:3], off
	s_add_i32 s23, s23, s19
	global_load_dword v0, v[0:1], off
	s_waitcnt vmcnt(1)
	v_mul_u32_u24_sdwa v26, v2, s21 dst_sel:DWORD dst_unused:UNUSED_PAD src0_sel:WORD_0 src1_sel:DWORD
	v_mul_u32_u24_sdwa v25, v2, s21 dst_sel:DWORD dst_unused:UNUSED_PAD src0_sel:WORD_1 src1_sel:DWORD
	v_mul_u32_u24_sdwa v24, v3, s21 dst_sel:DWORD dst_unused:UNUSED_PAD src0_sel:WORD_0 src1_sel:DWORD
	s_waitcnt vmcnt(0)
	v_and_b32_e32 v28, 0xff, v0
	v_bfe_u32 v29, v0, 8, 8
	v_bfe_u32 v30, v0, 16, 8
	v_lshrrev_b32_e32 v31, 24, v0
	v_mul_u32_u24_sdwa v27, v3, s21 dst_sel:DWORD dst_unused:UNUSED_PAD src0_sel:WORD_1 src1_sel:DWORD
.LBB0_10:                               ;   in Loop: Header=BB0_8 Depth=1
	v_lshl_add_u64 v[16:17], v[14:15], 0, s[2:3]
	global_load_dwordx4 v[4:7], v[14:15], off
	global_load_dwordx4 v[0:3], v[16:17], off
	v_add_u32_e32 v36, v28, v23
	v_add_u32_e32 v34, v30, v23
	;; [unrolled: 1-line block ×4, first 2 shown]
	v_cmp_ne_u32_e64 s[0:1], 1, v32
	s_andn2_b64 vcc, exec, s[12:13]
	s_waitcnt vmcnt(1)
	v_sub_u32_sdwa v8, v4, v36 dst_sel:DWORD dst_unused:UNUSED_PAD src0_sel:BYTE_0 src1_sel:DWORD
	v_sub_u32_sdwa v9, v4, v36 dst_sel:DWORD dst_unused:UNUSED_PAD src0_sel:BYTE_1 src1_sel:DWORD
	v_sub_u32_sdwa v11, v4, v36 dst_sel:DWORD dst_unused:UNUSED_PAD src0_sel:BYTE_2 src1_sel:DWORD
	v_sub_u32_sdwa v4, v4, v36 dst_sel:DWORD dst_unused:UNUSED_PAD src0_sel:BYTE_3 src1_sel:DWORD
	v_sub_u32_sdwa v37, v6, v34 dst_sel:DWORD dst_unused:UNUSED_PAD src0_sel:BYTE_0 src1_sel:DWORD
	v_sub_u32_sdwa v38, v6, v34 dst_sel:DWORD dst_unused:UNUSED_PAD src0_sel:BYTE_1 src1_sel:DWORD
	v_sub_u32_sdwa v39, v6, v34 dst_sel:DWORD dst_unused:UNUSED_PAD src0_sel:BYTE_2 src1_sel:DWORD
	v_sub_u32_sdwa v6, v6, v34 dst_sel:DWORD dst_unused:UNUSED_PAD src0_sel:BYTE_3 src1_sel:DWORD
	s_waitcnt vmcnt(0)
	v_sub_u32_sdwa v46, v2, v34 dst_sel:DWORD dst_unused:UNUSED_PAD src0_sel:BYTE_0 src1_sel:DWORD
	v_sub_u32_sdwa v47, v2, v34 dst_sel:DWORD dst_unused:UNUSED_PAD src0_sel:BYTE_1 src1_sel:DWORD
	v_sub_u32_sdwa v48, v2, v34 dst_sel:DWORD dst_unused:UNUSED_PAD src0_sel:BYTE_2 src1_sel:DWORD
	v_sub_u32_sdwa v2, v2, v34 dst_sel:DWORD dst_unused:UNUSED_PAD src0_sel:BYTE_3 src1_sel:DWORD
	v_sub_u32_sdwa v12, v5, v35 dst_sel:DWORD dst_unused:UNUSED_PAD src0_sel:BYTE_0 src1_sel:DWORD
	v_sub_u32_sdwa v18, v5, v35 dst_sel:DWORD dst_unused:UNUSED_PAD src0_sel:BYTE_1 src1_sel:DWORD
	v_cvt_f32_i32_e32 v11, v11
	v_cvt_f32_i32_e32 v4, v4
	v_sub_u32_sdwa v40, v0, v36 dst_sel:DWORD dst_unused:UNUSED_PAD src0_sel:BYTE_0 src1_sel:DWORD
	v_sub_u32_sdwa v41, v0, v36 dst_sel:DWORD dst_unused:UNUSED_PAD src0_sel:BYTE_1 src1_sel:DWORD
	v_sub_u32_sdwa v42, v0, v36 dst_sel:DWORD dst_unused:UNUSED_PAD src0_sel:BYTE_2 src1_sel:DWORD
	v_sub_u32_sdwa v0, v0, v36 dst_sel:DWORD dst_unused:UNUSED_PAD src0_sel:BYTE_3 src1_sel:DWORD
	v_cvt_f32_i32_e32 v37, v37
	v_cvt_f32_i32_e32 v38, v38
	;; [unrolled: 1-line block ×14, first 2 shown]
	v_cvt_f16_f32_e32 v11, v11
	v_cvt_f16_f32_e32 v4, v4
	;; [unrolled: 1-line block ×16, first 2 shown]
	v_pack_b32_f16 v4, v11, v4
	v_pack_b32_f16 v11, v37, v38
	;; [unrolled: 1-line block ×4, first 2 shown]
	v_sub_u32_sdwa v2, v7, v33 dst_sel:DWORD dst_unused:UNUSED_PAD src0_sel:BYTE_0 src1_sel:DWORD
	v_sub_u32_sdwa v37, v7, v33 dst_sel:DWORD dst_unused:UNUSED_PAD src0_sel:BYTE_1 src1_sel:DWORD
	v_sub_u32_sdwa v19, v5, v35 dst_sel:DWORD dst_unused:UNUSED_PAD src0_sel:BYTE_2 src1_sel:DWORD
	v_sub_u32_sdwa v5, v5, v35 dst_sel:DWORD dst_unused:UNUSED_PAD src0_sel:BYTE_3 src1_sel:DWORD
	v_sub_u32_sdwa v43, v1, v35 dst_sel:DWORD dst_unused:UNUSED_PAD src0_sel:BYTE_0 src1_sel:DWORD
	v_sub_u32_sdwa v44, v1, v35 dst_sel:DWORD dst_unused:UNUSED_PAD src0_sel:BYTE_1 src1_sel:DWORD
	v_sub_u32_sdwa v45, v1, v35 dst_sel:DWORD dst_unused:UNUSED_PAD src0_sel:BYTE_2 src1_sel:DWORD
	v_sub_u32_sdwa v1, v1, v35 dst_sel:DWORD dst_unused:UNUSED_PAD src0_sel:BYTE_3 src1_sel:DWORD
	v_pack_b32_f16 v8, v8, v9
	v_pack_b32_f16 v9, v12, v18
	;; [unrolled: 1-line block ×4, first 2 shown]
	v_cvt_f32_i32_e32 v2, v2
	v_cvt_f32_i32_e32 v37, v37
	v_sub_u32_sdwa v38, v7, v33 dst_sel:DWORD dst_unused:UNUSED_PAD src0_sel:BYTE_2 src1_sel:DWORD
	v_sub_u32_sdwa v7, v7, v33 dst_sel:DWORD dst_unused:UNUSED_PAD src0_sel:BYTE_3 src1_sel:DWORD
	v_sub_u32_sdwa v40, v3, v33 dst_sel:DWORD dst_unused:UNUSED_PAD src0_sel:BYTE_0 src1_sel:DWORD
	v_sub_u32_sdwa v41, v3, v33 dst_sel:DWORD dst_unused:UNUSED_PAD src0_sel:BYTE_1 src1_sel:DWORD
	v_sub_u32_sdwa v42, v3, v33 dst_sel:DWORD dst_unused:UNUSED_PAD src0_sel:BYTE_2 src1_sel:DWORD
	v_sub_u32_sdwa v3, v3, v33 dst_sel:DWORD dst_unused:UNUSED_PAD src0_sel:BYTE_3 src1_sel:DWORD
	v_cvt_f32_i32_e32 v19, v19
	v_cvt_f32_i32_e32 v5, v5
	;; [unrolled: 1-line block ×14, first 2 shown]
	v_cvt_f16_f32_e32 v2, v2
	v_cvt_f16_f32_e32 v37, v37
	;; [unrolled: 1-line block ×16, first 2 shown]
	v_pack_b32_f16 v2, v2, v37
	v_pack_b32_f16 v5, v19, v5
	;; [unrolled: 1-line block ×8, first 2 shown]
	v_pk_mul_f16 v43, v26, v8
	v_pk_mul_f16 v8, v25, v9
	;; [unrolled: 1-line block ×4, first 2 shown]
	v_lshlrev_b32_e32 v42, 16, v9
	v_lshlrev_b32_e32 v45, 16, v8
	v_pk_mul_f16 v37, v26, v4
	v_pk_mul_f16 v4, v25, v5
	;; [unrolled: 1-line block ×12, first 2 shown]
	v_or_b32_sdwa v1, v42, v44 dst_sel:DWORD dst_unused:UNUSED_PAD src0_sel:DWORD src1_sel:WORD_0
	v_or_b32_sdwa v0, v45, v43 dst_sel:DWORD dst_unused:UNUSED_PAD src0_sel:DWORD src1_sel:WORD_0
	v_and_b32_e32 v49, 0xffff0000, v9
	v_and_b32_e32 v50, 0xffff0000, v8
	v_lshlrev_b32_e32 v47, 16, v5
	v_lshlrev_b32_e32 v48, 16, v4
	v_and_b32_e32 v45, 0xffff0000, v5
	v_and_b32_e32 v46, 0xffff0000, v4
	v_lshlrev_b32_e32 v41, 16, v7
	v_lshlrev_b32_e32 v42, 16, v6
	v_and_b32_e32 v39, 0xffff0000, v7
	v_and_b32_e32 v40, 0xffff0000, v6
	v_lshlrev_b32_e32 v4, 16, v19
	v_lshlrev_b32_e32 v5, 16, v18
	s_cbranch_vccnz .LBB0_21
; %bb.11:                               ;   in Loop: Header=BB0_8 Depth=1
	v_mov_b32_e32 v6, s4
	ds_read_b128 v[52:55], v6
	ds_read_b128 v[6:9], v6 offset:16
	s_waitcnt lgkmcnt(1)
	v_mul_lo_u32 v51, v52, s22
	v_mul_lo_u32 v52, v53, s5
	v_add_u32_e32 v56, v51, v10
	v_add_u32_e32 v52, v52, v13
	v_ashrrev_i32_e32 v57, 31, v56
	v_ashrrev_i32_e32 v53, 31, v52
	v_lshl_add_u64 v[56:57], v[56:57], 1, s[14:15]
	global_store_dwordx2 v[56:57], v[0:1], off
	v_lshl_add_u64 v[52:53], v[52:53], 1, s[14:15]
	v_or_b32_sdwa v57, v49, v44 dst_sel:DWORD dst_unused:UNUSED_PAD src0_sel:DWORD src1_sel:WORD_1
	v_or_b32_sdwa v56, v50, v43 dst_sel:DWORD dst_unused:UNUSED_PAD src0_sel:DWORD src1_sel:WORD_1
	v_mul_lo_u32 v51, v54, s22
	global_store_dwordx2 v[52:53], v[56:57], off
	v_mul_lo_u32 v54, v55, s5
	v_add_u32_e32 v56, v51, v10
	v_add_u32_e32 v54, v54, v13
	v_ashrrev_i32_e32 v57, 31, v56
	v_or_b32_sdwa v53, v47, v38 dst_sel:DWORD dst_unused:UNUSED_PAD src0_sel:DWORD src1_sel:WORD_0
	v_or_b32_sdwa v52, v48, v37 dst_sel:DWORD dst_unused:UNUSED_PAD src0_sel:DWORD src1_sel:WORD_0
	v_lshl_add_u64 v[56:57], v[56:57], 1, s[14:15]
	v_ashrrev_i32_e32 v55, 31, v54
	global_store_dwordx2 v[56:57], v[52:53], off
	v_lshl_add_u64 v[52:53], v[54:55], 1, s[14:15]
	v_or_b32_sdwa v55, v45, v38 dst_sel:DWORD dst_unused:UNUSED_PAD src0_sel:DWORD src1_sel:WORD_1
	v_or_b32_sdwa v54, v46, v37 dst_sel:DWORD dst_unused:UNUSED_PAD src0_sel:DWORD src1_sel:WORD_1
	s_waitcnt lgkmcnt(0)
	v_mul_lo_u32 v51, v6, s22
	global_store_dwordx2 v[52:53], v[54:55], off
	v_mul_lo_u32 v6, v7, s5
	v_add_u32_e32 v54, v51, v10
	v_add_u32_e32 v6, v6, v13
	v_ashrrev_i32_e32 v55, 31, v54
	v_or_b32_sdwa v53, v41, v3 dst_sel:DWORD dst_unused:UNUSED_PAD src0_sel:DWORD src1_sel:WORD_0
	v_or_b32_sdwa v52, v42, v2 dst_sel:DWORD dst_unused:UNUSED_PAD src0_sel:DWORD src1_sel:WORD_0
	v_lshl_add_u64 v[54:55], v[54:55], 1, s[14:15]
	v_ashrrev_i32_e32 v7, 31, v6
	global_store_dwordx2 v[54:55], v[52:53], off
	v_lshl_add_u64 v[6:7], v[6:7], 1, s[14:15]
	v_or_b32_sdwa v53, v39, v3 dst_sel:DWORD dst_unused:UNUSED_PAD src0_sel:DWORD src1_sel:WORD_1
	v_or_b32_sdwa v52, v40, v2 dst_sel:DWORD dst_unused:UNUSED_PAD src0_sel:DWORD src1_sel:WORD_1
	global_store_dwordx2 v[6:7], v[52:53], off
	v_mul_lo_u32 v6, v8, s5
	v_add_u32_e32 v6, v6, v10
	v_ashrrev_i32_e32 v7, 31, v6
	v_lshl_add_u64 v[6:7], v[6:7], 1, s[14:15]
	v_or_b32_sdwa v53, v4, v11 dst_sel:DWORD dst_unused:UNUSED_PAD src0_sel:DWORD src1_sel:WORD_0
	v_or_b32_sdwa v52, v5, v12 dst_sel:DWORD dst_unused:UNUSED_PAD src0_sel:DWORD src1_sel:WORD_0
	global_store_dwordx2 v[6:7], v[52:53], off
	s_cbranch_execnz .LBB0_13
.LBB0_12:                               ;   in Loop: Header=BB0_8 Depth=1
	v_add_u32_e32 v6, s52, v20
	v_ashrrev_i32_e32 v7, 31, v6
	v_lshl_add_u64 v[6:7], v[6:7], 1, s[14:15]
	global_store_dwordx2 v[6:7], v[0:1], off
	v_add_u32_e32 v0, s53, v20
	v_ashrrev_i32_e32 v1, 31, v0
	v_lshl_add_u64 v[0:1], v[0:1], 1, s[14:15]
	v_or_b32_sdwa v7, v49, v44 dst_sel:DWORD dst_unused:UNUSED_PAD src0_sel:DWORD src1_sel:WORD_1
	v_or_b32_sdwa v6, v50, v43 dst_sel:DWORD dst_unused:UNUSED_PAD src0_sel:DWORD src1_sel:WORD_1
	global_store_dwordx2 v[0:1], v[6:7], off
	v_add_u32_e32 v0, s50, v20
	v_ashrrev_i32_e32 v1, 31, v0
	v_lshl_add_u64 v[0:1], v[0:1], 1, s[14:15]
	v_or_b32_sdwa v7, v47, v38 dst_sel:DWORD dst_unused:UNUSED_PAD src0_sel:DWORD src1_sel:WORD_0
	v_or_b32_sdwa v6, v48, v37 dst_sel:DWORD dst_unused:UNUSED_PAD src0_sel:DWORD src1_sel:WORD_0
	global_store_dwordx2 v[0:1], v[6:7], off
	v_add_u32_e32 v0, s51, v20
	v_ashrrev_i32_e32 v1, 31, v0
	v_lshl_add_u64 v[0:1], v[0:1], 1, s[14:15]
	v_or_b32_sdwa v7, v45, v38 dst_sel:DWORD dst_unused:UNUSED_PAD src0_sel:DWORD src1_sel:WORD_1
	v_or_b32_sdwa v6, v46, v37 dst_sel:DWORD dst_unused:UNUSED_PAD src0_sel:DWORD src1_sel:WORD_1
	global_store_dwordx2 v[0:1], v[6:7], off
	v_add_u32_e32 v0, s48, v20
	v_ashrrev_i32_e32 v1, 31, v0
	v_lshl_add_u64 v[0:1], v[0:1], 1, s[14:15]
	v_or_b32_sdwa v7, v41, v3 dst_sel:DWORD dst_unused:UNUSED_PAD src0_sel:DWORD src1_sel:WORD_0
	v_or_b32_sdwa v6, v42, v2 dst_sel:DWORD dst_unused:UNUSED_PAD src0_sel:DWORD src1_sel:WORD_0
	global_store_dwordx2 v[0:1], v[6:7], off
	v_add_u32_e32 v0, s49, v20
	v_ashrrev_i32_e32 v1, 31, v0
	v_lshl_add_u64 v[0:1], v[0:1], 1, s[14:15]
	v_or_b32_sdwa v3, v39, v3 dst_sel:DWORD dst_unused:UNUSED_PAD src0_sel:DWORD src1_sel:WORD_1
	v_or_b32_sdwa v2, v40, v2 dst_sel:DWORD dst_unused:UNUSED_PAD src0_sel:DWORD src1_sel:WORD_1
	global_store_dwordx2 v[0:1], v[2:3], off
	v_add_u32_e32 v0, s47, v20
	v_ashrrev_i32_e32 v1, 31, v0
	s_add_i32 s16, s18, 7
	v_lshl_add_u64 v[0:1], v[0:1], 1, s[14:15]
	v_or_b32_sdwa v3, v4, v11 dst_sel:DWORD dst_unused:UNUSED_PAD src0_sel:DWORD src1_sel:WORD_0
	v_or_b32_sdwa v2, v5, v12 dst_sel:DWORD dst_unused:UNUSED_PAD src0_sel:DWORD src1_sel:WORD_0
	v_mov_b32_e32 v9, s16
	global_store_dwordx2 v[0:1], v[2:3], off
.LBB0_13:                               ;   in Loop: Header=BB0_8 Depth=1
	v_lshl_add_u64 v[0:1], v[16:17], 0, s[2:3]
	v_lshl_add_u64 v[16:17], v[0:1], 0, s[2:3]
	global_load_dwordx4 v[4:7], v[0:1], off
	v_mul_lo_u32 v8, v9, s5
	global_load_dwordx4 v[0:3], v[16:17], off
	v_add_u32_e32 v8, v8, v10
	v_and_b32_e32 v19, 0xffff0000, v19
	v_and_b32_e32 v18, 0xffff0000, v18
	v_ashrrev_i32_e32 v9, 31, v8
	v_or_b32_sdwa v19, v19, v11 dst_sel:DWORD dst_unused:UNUSED_PAD src0_sel:DWORD src1_sel:WORD_1
	v_or_b32_sdwa v18, v18, v12 dst_sel:DWORD dst_unused:UNUSED_PAD src0_sel:DWORD src1_sel:WORD_1
	v_lshl_add_u64 v[8:9], v[8:9], 1, s[14:15]
	global_store_dwordx2 v[8:9], v[18:19], off
	s_and_b64 vcc, exec, s[0:1]
	s_waitcnt vmcnt(2)
	v_sub_u32_sdwa v8, v4, v36 dst_sel:DWORD dst_unused:UNUSED_PAD src0_sel:BYTE_0 src1_sel:DWORD
	v_sub_u32_sdwa v9, v4, v36 dst_sel:DWORD dst_unused:UNUSED_PAD src0_sel:BYTE_1 src1_sel:DWORD
	v_sub_u32_sdwa v12, v5, v35 dst_sel:DWORD dst_unused:UNUSED_PAD src0_sel:BYTE_0 src1_sel:DWORD
	v_sub_u32_sdwa v18, v5, v35 dst_sel:DWORD dst_unused:UNUSED_PAD src0_sel:BYTE_1 src1_sel:DWORD
	;; [unrolled: 2-line block ×3, first 2 shown]
	v_sub_u32_sdwa v39, v6, v34 dst_sel:DWORD dst_unused:UNUSED_PAD src0_sel:BYTE_2 src1_sel:DWORD
	v_sub_u32_sdwa v6, v6, v34 dst_sel:DWORD dst_unused:UNUSED_PAD src0_sel:BYTE_3 src1_sel:DWORD
	s_waitcnt vmcnt(1)
	v_sub_u32_sdwa v46, v2, v34 dst_sel:DWORD dst_unused:UNUSED_PAD src0_sel:BYTE_0 src1_sel:DWORD
	v_sub_u32_sdwa v47, v2, v34 dst_sel:DWORD dst_unused:UNUSED_PAD src0_sel:BYTE_1 src1_sel:DWORD
	v_sub_u32_sdwa v48, v2, v34 dst_sel:DWORD dst_unused:UNUSED_PAD src0_sel:BYTE_2 src1_sel:DWORD
	v_sub_u32_sdwa v2, v2, v34 dst_sel:DWORD dst_unused:UNUSED_PAD src0_sel:BYTE_3 src1_sel:DWORD
	v_sub_u32_sdwa v11, v4, v36 dst_sel:DWORD dst_unused:UNUSED_PAD src0_sel:BYTE_2 src1_sel:DWORD
	v_sub_u32_sdwa v4, v4, v36 dst_sel:DWORD dst_unused:UNUSED_PAD src0_sel:BYTE_3 src1_sel:DWORD
	v_cvt_f32_i32_e32 v8, v8
	v_cvt_f32_i32_e32 v9, v9
	v_sub_u32_sdwa v40, v0, v36 dst_sel:DWORD dst_unused:UNUSED_PAD src0_sel:BYTE_0 src1_sel:DWORD
	v_sub_u32_sdwa v41, v0, v36 dst_sel:DWORD dst_unused:UNUSED_PAD src0_sel:BYTE_1 src1_sel:DWORD
	v_sub_u32_sdwa v42, v0, v36 dst_sel:DWORD dst_unused:UNUSED_PAD src0_sel:BYTE_2 src1_sel:DWORD
	v_sub_u32_sdwa v0, v0, v36 dst_sel:DWORD dst_unused:UNUSED_PAD src0_sel:BYTE_3 src1_sel:DWORD
	v_cvt_f32_i32_e32 v12, v12
	v_cvt_f32_i32_e32 v18, v18
	;; [unrolled: 1-line block ×14, first 2 shown]
	v_cvt_f16_f32_e32 v8, v8
	v_cvt_f16_f32_e32 v9, v9
	;; [unrolled: 1-line block ×16, first 2 shown]
	v_pack_b32_f16 v8, v8, v9
	v_pack_b32_f16 v9, v12, v18
	;; [unrolled: 1-line block ×5, first 2 shown]
	v_sub_u32_sdwa v2, v7, v33 dst_sel:DWORD dst_unused:UNUSED_PAD src0_sel:BYTE_0 src1_sel:DWORD
	v_sub_u32_sdwa v37, v7, v33 dst_sel:DWORD dst_unused:UNUSED_PAD src0_sel:BYTE_1 src1_sel:DWORD
	v_sub_u32_sdwa v19, v5, v35 dst_sel:DWORD dst_unused:UNUSED_PAD src0_sel:BYTE_2 src1_sel:DWORD
	v_sub_u32_sdwa v5, v5, v35 dst_sel:DWORD dst_unused:UNUSED_PAD src0_sel:BYTE_3 src1_sel:DWORD
	v_sub_u32_sdwa v43, v1, v35 dst_sel:DWORD dst_unused:UNUSED_PAD src0_sel:BYTE_0 src1_sel:DWORD
	v_sub_u32_sdwa v44, v1, v35 dst_sel:DWORD dst_unused:UNUSED_PAD src0_sel:BYTE_1 src1_sel:DWORD
	v_sub_u32_sdwa v45, v1, v35 dst_sel:DWORD dst_unused:UNUSED_PAD src0_sel:BYTE_2 src1_sel:DWORD
	v_sub_u32_sdwa v1, v1, v35 dst_sel:DWORD dst_unused:UNUSED_PAD src0_sel:BYTE_3 src1_sel:DWORD
	v_pack_b32_f16 v4, v11, v4
	v_pack_b32_f16 v11, v40, v41
	;; [unrolled: 1-line block ×3, first 2 shown]
	v_cvt_f32_i32_e32 v2, v2
	v_cvt_f32_i32_e32 v37, v37
	v_sub_u32_sdwa v38, v7, v33 dst_sel:DWORD dst_unused:UNUSED_PAD src0_sel:BYTE_2 src1_sel:DWORD
	v_sub_u32_sdwa v7, v7, v33 dst_sel:DWORD dst_unused:UNUSED_PAD src0_sel:BYTE_3 src1_sel:DWORD
	v_sub_u32_sdwa v40, v3, v33 dst_sel:DWORD dst_unused:UNUSED_PAD src0_sel:BYTE_0 src1_sel:DWORD
	v_sub_u32_sdwa v41, v3, v33 dst_sel:DWORD dst_unused:UNUSED_PAD src0_sel:BYTE_1 src1_sel:DWORD
	v_sub_u32_sdwa v42, v3, v33 dst_sel:DWORD dst_unused:UNUSED_PAD src0_sel:BYTE_2 src1_sel:DWORD
	v_sub_u32_sdwa v3, v3, v33 dst_sel:DWORD dst_unused:UNUSED_PAD src0_sel:BYTE_3 src1_sel:DWORD
	v_cvt_f32_i32_e32 v19, v19
	v_cvt_f32_i32_e32 v5, v5
	;; [unrolled: 1-line block ×14, first 2 shown]
	v_cvt_f16_f32_e32 v2, v2
	v_cvt_f16_f32_e32 v37, v37
	;; [unrolled: 1-line block ×16, first 2 shown]
	v_pack_b32_f16 v2, v2, v37
	v_pack_b32_f16 v5, v19, v5
	;; [unrolled: 1-line block ×8, first 2 shown]
	v_pk_mul_f16 v43, v26, v8
	v_pk_mul_f16 v8, v25, v9
	;; [unrolled: 1-line block ×4, first 2 shown]
	v_lshlrev_b32_e32 v42, 16, v9
	v_lshlrev_b32_e32 v45, 16, v8
	v_pk_mul_f16 v37, v26, v4
	v_pk_mul_f16 v4, v25, v5
	;; [unrolled: 1-line block ×12, first 2 shown]
	v_or_b32_sdwa v1, v42, v44 dst_sel:DWORD dst_unused:UNUSED_PAD src0_sel:DWORD src1_sel:WORD_0
	v_or_b32_sdwa v0, v45, v43 dst_sel:DWORD dst_unused:UNUSED_PAD src0_sel:DWORD src1_sel:WORD_0
	v_and_b32_e32 v49, 0xffff0000, v9
	v_and_b32_e32 v50, 0xffff0000, v8
	v_lshlrev_b32_e32 v47, 16, v5
	v_lshlrev_b32_e32 v48, 16, v4
	v_and_b32_e32 v45, 0xffff0000, v5
	v_and_b32_e32 v46, 0xffff0000, v4
	v_lshlrev_b32_e32 v41, 16, v7
	v_lshlrev_b32_e32 v42, 16, v6
	;; [unrolled: 4-line block ×3, first 2 shown]
	s_cbranch_vccnz .LBB0_22
; %bb.14:                               ;   in Loop: Header=BB0_8 Depth=1
	v_mov_b32_e32 v6, s4
	ds_read_b128 v[52:55], v6 offset:32
	ds_read_b128 v[6:9], v6 offset:48
	s_waitcnt lgkmcnt(1)
	v_mul_lo_u32 v51, v52, s22
	v_mul_lo_u32 v52, v53, s5
	v_add_u32_e32 v56, v51, v10
	v_add_u32_e32 v52, v52, v13
	v_ashrrev_i32_e32 v57, 31, v56
	v_ashrrev_i32_e32 v53, 31, v52
	v_lshl_add_u64 v[56:57], v[56:57], 1, s[14:15]
	global_store_dwordx2 v[56:57], v[0:1], off
	v_lshl_add_u64 v[52:53], v[52:53], 1, s[14:15]
	v_or_b32_sdwa v57, v49, v44 dst_sel:DWORD dst_unused:UNUSED_PAD src0_sel:DWORD src1_sel:WORD_1
	v_or_b32_sdwa v56, v50, v43 dst_sel:DWORD dst_unused:UNUSED_PAD src0_sel:DWORD src1_sel:WORD_1
	v_mul_lo_u32 v51, v54, s22
	global_store_dwordx2 v[52:53], v[56:57], off
	v_mul_lo_u32 v54, v55, s5
	v_add_u32_e32 v56, v51, v10
	v_add_u32_e32 v54, v54, v13
	v_ashrrev_i32_e32 v57, 31, v56
	v_or_b32_sdwa v53, v47, v38 dst_sel:DWORD dst_unused:UNUSED_PAD src0_sel:DWORD src1_sel:WORD_0
	v_or_b32_sdwa v52, v48, v37 dst_sel:DWORD dst_unused:UNUSED_PAD src0_sel:DWORD src1_sel:WORD_0
	v_lshl_add_u64 v[56:57], v[56:57], 1, s[14:15]
	v_ashrrev_i32_e32 v55, 31, v54
	global_store_dwordx2 v[56:57], v[52:53], off
	v_lshl_add_u64 v[52:53], v[54:55], 1, s[14:15]
	v_or_b32_sdwa v55, v45, v38 dst_sel:DWORD dst_unused:UNUSED_PAD src0_sel:DWORD src1_sel:WORD_1
	v_or_b32_sdwa v54, v46, v37 dst_sel:DWORD dst_unused:UNUSED_PAD src0_sel:DWORD src1_sel:WORD_1
	s_waitcnt lgkmcnt(0)
	v_mul_lo_u32 v51, v6, s22
	global_store_dwordx2 v[52:53], v[54:55], off
	v_mul_lo_u32 v6, v7, s5
	v_add_u32_e32 v54, v51, v10
	v_add_u32_e32 v6, v6, v13
	v_ashrrev_i32_e32 v55, 31, v54
	v_or_b32_sdwa v53, v41, v3 dst_sel:DWORD dst_unused:UNUSED_PAD src0_sel:DWORD src1_sel:WORD_0
	v_or_b32_sdwa v52, v42, v2 dst_sel:DWORD dst_unused:UNUSED_PAD src0_sel:DWORD src1_sel:WORD_0
	v_lshl_add_u64 v[54:55], v[54:55], 1, s[14:15]
	v_ashrrev_i32_e32 v7, 31, v6
	global_store_dwordx2 v[54:55], v[52:53], off
	v_lshl_add_u64 v[6:7], v[6:7], 1, s[14:15]
	v_or_b32_sdwa v53, v39, v3 dst_sel:DWORD dst_unused:UNUSED_PAD src0_sel:DWORD src1_sel:WORD_1
	v_or_b32_sdwa v52, v40, v2 dst_sel:DWORD dst_unused:UNUSED_PAD src0_sel:DWORD src1_sel:WORD_1
	global_store_dwordx2 v[6:7], v[52:53], off
	v_mul_lo_u32 v6, v8, s5
	v_add_u32_e32 v6, v6, v10
	v_ashrrev_i32_e32 v7, 31, v6
	v_lshl_add_u64 v[6:7], v[6:7], 1, s[14:15]
	v_or_b32_sdwa v53, v4, v11 dst_sel:DWORD dst_unused:UNUSED_PAD src0_sel:DWORD src1_sel:WORD_0
	v_or_b32_sdwa v52, v5, v12 dst_sel:DWORD dst_unused:UNUSED_PAD src0_sel:DWORD src1_sel:WORD_0
	global_store_dwordx2 v[6:7], v[52:53], off
	s_cbranch_execnz .LBB0_16
.LBB0_15:                               ;   in Loop: Header=BB0_8 Depth=1
	v_add_u32_e32 v6, s46, v20
	v_ashrrev_i32_e32 v7, 31, v6
	v_lshl_add_u64 v[6:7], v[6:7], 1, s[14:15]
	global_store_dwordx2 v[6:7], v[0:1], off
	v_add_u32_e32 v0, s45, v20
	v_ashrrev_i32_e32 v1, 31, v0
	v_lshl_add_u64 v[0:1], v[0:1], 1, s[14:15]
	v_or_b32_sdwa v7, v49, v44 dst_sel:DWORD dst_unused:UNUSED_PAD src0_sel:DWORD src1_sel:WORD_1
	v_or_b32_sdwa v6, v50, v43 dst_sel:DWORD dst_unused:UNUSED_PAD src0_sel:DWORD src1_sel:WORD_1
	global_store_dwordx2 v[0:1], v[6:7], off
	v_add_u32_e32 v0, s43, v20
	v_ashrrev_i32_e32 v1, 31, v0
	v_lshl_add_u64 v[0:1], v[0:1], 1, s[14:15]
	v_or_b32_sdwa v7, v47, v38 dst_sel:DWORD dst_unused:UNUSED_PAD src0_sel:DWORD src1_sel:WORD_0
	v_or_b32_sdwa v6, v48, v37 dst_sel:DWORD dst_unused:UNUSED_PAD src0_sel:DWORD src1_sel:WORD_0
	global_store_dwordx2 v[0:1], v[6:7], off
	v_add_u32_e32 v0, s44, v20
	v_ashrrev_i32_e32 v1, 31, v0
	v_lshl_add_u64 v[0:1], v[0:1], 1, s[14:15]
	v_or_b32_sdwa v7, v45, v38 dst_sel:DWORD dst_unused:UNUSED_PAD src0_sel:DWORD src1_sel:WORD_1
	v_or_b32_sdwa v6, v46, v37 dst_sel:DWORD dst_unused:UNUSED_PAD src0_sel:DWORD src1_sel:WORD_1
	global_store_dwordx2 v[0:1], v[6:7], off
	v_add_u32_e32 v0, s41, v20
	v_ashrrev_i32_e32 v1, 31, v0
	v_lshl_add_u64 v[0:1], v[0:1], 1, s[14:15]
	v_or_b32_sdwa v7, v41, v3 dst_sel:DWORD dst_unused:UNUSED_PAD src0_sel:DWORD src1_sel:WORD_0
	v_or_b32_sdwa v6, v42, v2 dst_sel:DWORD dst_unused:UNUSED_PAD src0_sel:DWORD src1_sel:WORD_0
	global_store_dwordx2 v[0:1], v[6:7], off
	v_add_u32_e32 v0, s42, v20
	v_ashrrev_i32_e32 v1, 31, v0
	v_lshl_add_u64 v[0:1], v[0:1], 1, s[14:15]
	v_or_b32_sdwa v3, v39, v3 dst_sel:DWORD dst_unused:UNUSED_PAD src0_sel:DWORD src1_sel:WORD_1
	v_or_b32_sdwa v2, v40, v2 dst_sel:DWORD dst_unused:UNUSED_PAD src0_sel:DWORD src1_sel:WORD_1
	global_store_dwordx2 v[0:1], v[2:3], off
	v_add_u32_e32 v0, s40, v20
	v_ashrrev_i32_e32 v1, 31, v0
	s_add_i32 s16, s18, 15
	v_lshl_add_u64 v[0:1], v[0:1], 1, s[14:15]
	v_or_b32_sdwa v3, v4, v11 dst_sel:DWORD dst_unused:UNUSED_PAD src0_sel:DWORD src1_sel:WORD_0
	v_or_b32_sdwa v2, v5, v12 dst_sel:DWORD dst_unused:UNUSED_PAD src0_sel:DWORD src1_sel:WORD_0
	v_mov_b32_e32 v9, s16
	global_store_dwordx2 v[0:1], v[2:3], off
.LBB0_16:                               ;   in Loop: Header=BB0_8 Depth=1
	v_lshl_add_u64 v[0:1], v[16:17], 0, s[2:3]
	v_lshl_add_u64 v[16:17], v[0:1], 0, s[2:3]
	global_load_dwordx4 v[4:7], v[0:1], off
	v_mul_lo_u32 v8, v9, s5
	global_load_dwordx4 v[0:3], v[16:17], off
	v_add_u32_e32 v8, v8, v10
	v_and_b32_e32 v19, 0xffff0000, v19
	v_and_b32_e32 v18, 0xffff0000, v18
	v_ashrrev_i32_e32 v9, 31, v8
	v_or_b32_sdwa v19, v19, v11 dst_sel:DWORD dst_unused:UNUSED_PAD src0_sel:DWORD src1_sel:WORD_1
	v_or_b32_sdwa v18, v18, v12 dst_sel:DWORD dst_unused:UNUSED_PAD src0_sel:DWORD src1_sel:WORD_1
	v_lshl_add_u64 v[8:9], v[8:9], 1, s[14:15]
	global_store_dwordx2 v[8:9], v[18:19], off
	s_and_b64 vcc, exec, s[0:1]
	s_waitcnt vmcnt(2)
	v_sub_u32_sdwa v8, v4, v36 dst_sel:DWORD dst_unused:UNUSED_PAD src0_sel:BYTE_0 src1_sel:DWORD
	v_sub_u32_sdwa v9, v4, v36 dst_sel:DWORD dst_unused:UNUSED_PAD src0_sel:BYTE_1 src1_sel:DWORD
	v_sub_u32_sdwa v12, v5, v35 dst_sel:DWORD dst_unused:UNUSED_PAD src0_sel:BYTE_0 src1_sel:DWORD
	v_sub_u32_sdwa v18, v5, v35 dst_sel:DWORD dst_unused:UNUSED_PAD src0_sel:BYTE_1 src1_sel:DWORD
	v_sub_u32_sdwa v37, v6, v34 dst_sel:DWORD dst_unused:UNUSED_PAD src0_sel:BYTE_0 src1_sel:DWORD
	v_sub_u32_sdwa v38, v6, v34 dst_sel:DWORD dst_unused:UNUSED_PAD src0_sel:BYTE_1 src1_sel:DWORD
	v_sub_u32_sdwa v39, v6, v34 dst_sel:DWORD dst_unused:UNUSED_PAD src0_sel:BYTE_2 src1_sel:DWORD
	v_sub_u32_sdwa v6, v6, v34 dst_sel:DWORD dst_unused:UNUSED_PAD src0_sel:BYTE_3 src1_sel:DWORD
	s_waitcnt vmcnt(1)
	v_sub_u32_sdwa v46, v2, v34 dst_sel:DWORD dst_unused:UNUSED_PAD src0_sel:BYTE_0 src1_sel:DWORD
	v_sub_u32_sdwa v47, v2, v34 dst_sel:DWORD dst_unused:UNUSED_PAD src0_sel:BYTE_1 src1_sel:DWORD
	v_sub_u32_sdwa v48, v2, v34 dst_sel:DWORD dst_unused:UNUSED_PAD src0_sel:BYTE_2 src1_sel:DWORD
	v_sub_u32_sdwa v2, v2, v34 dst_sel:DWORD dst_unused:UNUSED_PAD src0_sel:BYTE_3 src1_sel:DWORD
	v_sub_u32_sdwa v11, v4, v36 dst_sel:DWORD dst_unused:UNUSED_PAD src0_sel:BYTE_2 src1_sel:DWORD
	v_sub_u32_sdwa v4, v4, v36 dst_sel:DWORD dst_unused:UNUSED_PAD src0_sel:BYTE_3 src1_sel:DWORD
	v_cvt_f32_i32_e32 v8, v8
	v_cvt_f32_i32_e32 v9, v9
	v_sub_u32_sdwa v40, v0, v36 dst_sel:DWORD dst_unused:UNUSED_PAD src0_sel:BYTE_0 src1_sel:DWORD
	v_sub_u32_sdwa v41, v0, v36 dst_sel:DWORD dst_unused:UNUSED_PAD src0_sel:BYTE_1 src1_sel:DWORD
	v_sub_u32_sdwa v42, v0, v36 dst_sel:DWORD dst_unused:UNUSED_PAD src0_sel:BYTE_2 src1_sel:DWORD
	v_sub_u32_sdwa v0, v0, v36 dst_sel:DWORD dst_unused:UNUSED_PAD src0_sel:BYTE_3 src1_sel:DWORD
	v_cvt_f32_i32_e32 v12, v12
	v_cvt_f32_i32_e32 v18, v18
	;; [unrolled: 1-line block ×14, first 2 shown]
	v_cvt_f16_f32_e32 v8, v8
	v_cvt_f16_f32_e32 v9, v9
	;; [unrolled: 1-line block ×16, first 2 shown]
	v_pack_b32_f16 v8, v8, v9
	v_pack_b32_f16 v9, v12, v18
	;; [unrolled: 1-line block ×5, first 2 shown]
	v_sub_u32_sdwa v2, v7, v33 dst_sel:DWORD dst_unused:UNUSED_PAD src0_sel:BYTE_0 src1_sel:DWORD
	v_sub_u32_sdwa v37, v7, v33 dst_sel:DWORD dst_unused:UNUSED_PAD src0_sel:BYTE_1 src1_sel:DWORD
	v_sub_u32_sdwa v19, v5, v35 dst_sel:DWORD dst_unused:UNUSED_PAD src0_sel:BYTE_2 src1_sel:DWORD
	v_sub_u32_sdwa v5, v5, v35 dst_sel:DWORD dst_unused:UNUSED_PAD src0_sel:BYTE_3 src1_sel:DWORD
	v_sub_u32_sdwa v43, v1, v35 dst_sel:DWORD dst_unused:UNUSED_PAD src0_sel:BYTE_0 src1_sel:DWORD
	v_sub_u32_sdwa v44, v1, v35 dst_sel:DWORD dst_unused:UNUSED_PAD src0_sel:BYTE_1 src1_sel:DWORD
	v_sub_u32_sdwa v45, v1, v35 dst_sel:DWORD dst_unused:UNUSED_PAD src0_sel:BYTE_2 src1_sel:DWORD
	v_sub_u32_sdwa v1, v1, v35 dst_sel:DWORD dst_unused:UNUSED_PAD src0_sel:BYTE_3 src1_sel:DWORD
	v_pack_b32_f16 v4, v11, v4
	v_pack_b32_f16 v11, v40, v41
	;; [unrolled: 1-line block ×3, first 2 shown]
	v_cvt_f32_i32_e32 v2, v2
	v_cvt_f32_i32_e32 v37, v37
	v_sub_u32_sdwa v38, v7, v33 dst_sel:DWORD dst_unused:UNUSED_PAD src0_sel:BYTE_2 src1_sel:DWORD
	v_sub_u32_sdwa v7, v7, v33 dst_sel:DWORD dst_unused:UNUSED_PAD src0_sel:BYTE_3 src1_sel:DWORD
	v_sub_u32_sdwa v40, v3, v33 dst_sel:DWORD dst_unused:UNUSED_PAD src0_sel:BYTE_0 src1_sel:DWORD
	v_sub_u32_sdwa v41, v3, v33 dst_sel:DWORD dst_unused:UNUSED_PAD src0_sel:BYTE_1 src1_sel:DWORD
	v_sub_u32_sdwa v42, v3, v33 dst_sel:DWORD dst_unused:UNUSED_PAD src0_sel:BYTE_2 src1_sel:DWORD
	v_sub_u32_sdwa v3, v3, v33 dst_sel:DWORD dst_unused:UNUSED_PAD src0_sel:BYTE_3 src1_sel:DWORD
	v_cvt_f32_i32_e32 v19, v19
	v_cvt_f32_i32_e32 v5, v5
	;; [unrolled: 1-line block ×14, first 2 shown]
	v_cvt_f16_f32_e32 v2, v2
	v_cvt_f16_f32_e32 v37, v37
	;; [unrolled: 1-line block ×16, first 2 shown]
	v_pack_b32_f16 v2, v2, v37
	v_pack_b32_f16 v5, v19, v5
	;; [unrolled: 1-line block ×8, first 2 shown]
	v_pk_mul_f16 v43, v26, v8
	v_pk_mul_f16 v8, v25, v9
	;; [unrolled: 1-line block ×4, first 2 shown]
	v_lshlrev_b32_e32 v42, 16, v9
	v_lshlrev_b32_e32 v45, 16, v8
	v_pk_mul_f16 v37, v26, v4
	v_pk_mul_f16 v4, v25, v5
	;; [unrolled: 1-line block ×12, first 2 shown]
	v_or_b32_sdwa v1, v42, v44 dst_sel:DWORD dst_unused:UNUSED_PAD src0_sel:DWORD src1_sel:WORD_0
	v_or_b32_sdwa v0, v45, v43 dst_sel:DWORD dst_unused:UNUSED_PAD src0_sel:DWORD src1_sel:WORD_0
	v_and_b32_e32 v49, 0xffff0000, v9
	v_and_b32_e32 v50, 0xffff0000, v8
	v_lshlrev_b32_e32 v47, 16, v5
	v_lshlrev_b32_e32 v48, 16, v4
	v_and_b32_e32 v45, 0xffff0000, v5
	v_and_b32_e32 v46, 0xffff0000, v4
	v_lshlrev_b32_e32 v41, 16, v7
	v_lshlrev_b32_e32 v42, 16, v6
	;; [unrolled: 4-line block ×3, first 2 shown]
	s_cbranch_vccnz .LBB0_23
; %bb.17:                               ;   in Loop: Header=BB0_8 Depth=1
	v_mov_b32_e32 v6, s4
	ds_read_b128 v[52:55], v6 offset:64
	ds_read_b128 v[6:9], v6 offset:80
	s_waitcnt lgkmcnt(1)
	v_mul_lo_u32 v51, v52, s22
	v_mul_lo_u32 v52, v53, s5
	v_add_u32_e32 v56, v51, v10
	v_add_u32_e32 v52, v52, v13
	v_ashrrev_i32_e32 v57, 31, v56
	v_ashrrev_i32_e32 v53, 31, v52
	v_lshl_add_u64 v[56:57], v[56:57], 1, s[14:15]
	global_store_dwordx2 v[56:57], v[0:1], off
	v_lshl_add_u64 v[52:53], v[52:53], 1, s[14:15]
	v_or_b32_sdwa v57, v49, v44 dst_sel:DWORD dst_unused:UNUSED_PAD src0_sel:DWORD src1_sel:WORD_1
	v_or_b32_sdwa v56, v50, v43 dst_sel:DWORD dst_unused:UNUSED_PAD src0_sel:DWORD src1_sel:WORD_1
	v_mul_lo_u32 v51, v54, s22
	global_store_dwordx2 v[52:53], v[56:57], off
	v_mul_lo_u32 v54, v55, s5
	v_add_u32_e32 v56, v51, v10
	v_add_u32_e32 v54, v54, v13
	v_ashrrev_i32_e32 v57, 31, v56
	v_or_b32_sdwa v53, v47, v38 dst_sel:DWORD dst_unused:UNUSED_PAD src0_sel:DWORD src1_sel:WORD_0
	v_or_b32_sdwa v52, v48, v37 dst_sel:DWORD dst_unused:UNUSED_PAD src0_sel:DWORD src1_sel:WORD_0
	v_lshl_add_u64 v[56:57], v[56:57], 1, s[14:15]
	v_ashrrev_i32_e32 v55, 31, v54
	global_store_dwordx2 v[56:57], v[52:53], off
	v_lshl_add_u64 v[52:53], v[54:55], 1, s[14:15]
	v_or_b32_sdwa v55, v45, v38 dst_sel:DWORD dst_unused:UNUSED_PAD src0_sel:DWORD src1_sel:WORD_1
	v_or_b32_sdwa v54, v46, v37 dst_sel:DWORD dst_unused:UNUSED_PAD src0_sel:DWORD src1_sel:WORD_1
	s_waitcnt lgkmcnt(0)
	v_mul_lo_u32 v51, v6, s22
	global_store_dwordx2 v[52:53], v[54:55], off
	v_mul_lo_u32 v6, v7, s5
	v_add_u32_e32 v54, v51, v10
	v_add_u32_e32 v6, v6, v13
	v_ashrrev_i32_e32 v55, 31, v54
	v_or_b32_sdwa v53, v41, v3 dst_sel:DWORD dst_unused:UNUSED_PAD src0_sel:DWORD src1_sel:WORD_0
	v_or_b32_sdwa v52, v42, v2 dst_sel:DWORD dst_unused:UNUSED_PAD src0_sel:DWORD src1_sel:WORD_0
	v_lshl_add_u64 v[54:55], v[54:55], 1, s[14:15]
	v_ashrrev_i32_e32 v7, 31, v6
	global_store_dwordx2 v[54:55], v[52:53], off
	v_lshl_add_u64 v[6:7], v[6:7], 1, s[14:15]
	v_or_b32_sdwa v53, v39, v3 dst_sel:DWORD dst_unused:UNUSED_PAD src0_sel:DWORD src1_sel:WORD_1
	v_or_b32_sdwa v52, v40, v2 dst_sel:DWORD dst_unused:UNUSED_PAD src0_sel:DWORD src1_sel:WORD_1
	global_store_dwordx2 v[6:7], v[52:53], off
	v_mul_lo_u32 v6, v8, s5
	v_add_u32_e32 v6, v6, v10
	v_ashrrev_i32_e32 v7, 31, v6
	v_lshl_add_u64 v[6:7], v[6:7], 1, s[14:15]
	v_or_b32_sdwa v53, v4, v11 dst_sel:DWORD dst_unused:UNUSED_PAD src0_sel:DWORD src1_sel:WORD_0
	v_or_b32_sdwa v52, v5, v12 dst_sel:DWORD dst_unused:UNUSED_PAD src0_sel:DWORD src1_sel:WORD_0
	global_store_dwordx2 v[6:7], v[52:53], off
	s_cbranch_execnz .LBB0_19
.LBB0_18:                               ;   in Loop: Header=BB0_8 Depth=1
	v_add_u32_e32 v6, s39, v20
	v_ashrrev_i32_e32 v7, 31, v6
	v_lshl_add_u64 v[6:7], v[6:7], 1, s[14:15]
	global_store_dwordx2 v[6:7], v[0:1], off
	v_add_u32_e32 v0, s38, v20
	v_ashrrev_i32_e32 v1, 31, v0
	v_lshl_add_u64 v[0:1], v[0:1], 1, s[14:15]
	v_or_b32_sdwa v7, v49, v44 dst_sel:DWORD dst_unused:UNUSED_PAD src0_sel:DWORD src1_sel:WORD_1
	v_or_b32_sdwa v6, v50, v43 dst_sel:DWORD dst_unused:UNUSED_PAD src0_sel:DWORD src1_sel:WORD_1
	global_store_dwordx2 v[0:1], v[6:7], off
	v_add_u32_e32 v0, s36, v20
	v_ashrrev_i32_e32 v1, 31, v0
	v_lshl_add_u64 v[0:1], v[0:1], 1, s[14:15]
	v_or_b32_sdwa v7, v47, v38 dst_sel:DWORD dst_unused:UNUSED_PAD src0_sel:DWORD src1_sel:WORD_0
	v_or_b32_sdwa v6, v48, v37 dst_sel:DWORD dst_unused:UNUSED_PAD src0_sel:DWORD src1_sel:WORD_0
	global_store_dwordx2 v[0:1], v[6:7], off
	v_add_u32_e32 v0, s37, v20
	v_ashrrev_i32_e32 v1, 31, v0
	v_lshl_add_u64 v[0:1], v[0:1], 1, s[14:15]
	v_or_b32_sdwa v7, v45, v38 dst_sel:DWORD dst_unused:UNUSED_PAD src0_sel:DWORD src1_sel:WORD_1
	v_or_b32_sdwa v6, v46, v37 dst_sel:DWORD dst_unused:UNUSED_PAD src0_sel:DWORD src1_sel:WORD_1
	global_store_dwordx2 v[0:1], v[6:7], off
	v_add_u32_e32 v0, s34, v20
	v_ashrrev_i32_e32 v1, 31, v0
	v_lshl_add_u64 v[0:1], v[0:1], 1, s[14:15]
	v_or_b32_sdwa v7, v41, v3 dst_sel:DWORD dst_unused:UNUSED_PAD src0_sel:DWORD src1_sel:WORD_0
	v_or_b32_sdwa v6, v42, v2 dst_sel:DWORD dst_unused:UNUSED_PAD src0_sel:DWORD src1_sel:WORD_0
	global_store_dwordx2 v[0:1], v[6:7], off
	v_add_u32_e32 v0, s35, v20
	v_ashrrev_i32_e32 v1, 31, v0
	v_lshl_add_u64 v[0:1], v[0:1], 1, s[14:15]
	v_or_b32_sdwa v3, v39, v3 dst_sel:DWORD dst_unused:UNUSED_PAD src0_sel:DWORD src1_sel:WORD_1
	v_or_b32_sdwa v2, v40, v2 dst_sel:DWORD dst_unused:UNUSED_PAD src0_sel:DWORD src1_sel:WORD_1
	global_store_dwordx2 v[0:1], v[2:3], off
	v_add_u32_e32 v0, s33, v20
	v_ashrrev_i32_e32 v1, 31, v0
	s_add_i32 s16, s18, 23
	v_lshl_add_u64 v[0:1], v[0:1], 1, s[14:15]
	v_or_b32_sdwa v3, v4, v11 dst_sel:DWORD dst_unused:UNUSED_PAD src0_sel:DWORD src1_sel:WORD_0
	v_or_b32_sdwa v2, v5, v12 dst_sel:DWORD dst_unused:UNUSED_PAD src0_sel:DWORD src1_sel:WORD_0
	v_mov_b32_e32 v9, s16
	global_store_dwordx2 v[0:1], v[2:3], off
.LBB0_19:                               ;   in Loop: Header=BB0_8 Depth=1
	v_lshl_add_u64 v[0:1], v[16:17], 0, s[2:3]
	global_load_dwordx4 v[4:7], v[0:1], off
	v_lshl_add_u64 v[0:1], v[0:1], 0, s[2:3]
	global_load_dwordx4 v[0:3], v[0:1], off
	v_mul_lo_u32 v8, v9, s5
	v_add_u32_e32 v8, v8, v10
	v_and_b32_e32 v16, 0xffff0000, v19
	v_and_b32_e32 v18, 0xffff0000, v18
	v_ashrrev_i32_e32 v9, 31, v8
	v_or_b32_sdwa v17, v16, v11 dst_sel:DWORD dst_unused:UNUSED_PAD src0_sel:DWORD src1_sel:WORD_1
	v_or_b32_sdwa v16, v18, v12 dst_sel:DWORD dst_unused:UNUSED_PAD src0_sel:DWORD src1_sel:WORD_1
	v_lshl_add_u64 v[8:9], v[8:9], 1, s[14:15]
	global_store_dwordx2 v[8:9], v[16:17], off
	s_and_b64 vcc, exec, s[0:1]
	s_waitcnt vmcnt(2)
	v_sub_u32_sdwa v8, v4, v36 dst_sel:DWORD dst_unused:UNUSED_PAD src0_sel:BYTE_0 src1_sel:DWORD
	v_sub_u32_sdwa v9, v4, v36 dst_sel:DWORD dst_unused:UNUSED_PAD src0_sel:BYTE_1 src1_sel:DWORD
	v_sub_u32_sdwa v12, v5, v35 dst_sel:DWORD dst_unused:UNUSED_PAD src0_sel:BYTE_0 src1_sel:DWORD
	v_sub_u32_sdwa v16, v5, v35 dst_sel:DWORD dst_unused:UNUSED_PAD src0_sel:BYTE_1 src1_sel:DWORD
	;; [unrolled: 2-line block ×3, first 2 shown]
	v_sub_u32_sdwa v37, v6, v34 dst_sel:DWORD dst_unused:UNUSED_PAD src0_sel:BYTE_2 src1_sel:DWORD
	v_sub_u32_sdwa v11, v4, v36 dst_sel:DWORD dst_unused:UNUSED_PAD src0_sel:BYTE_2 src1_sel:DWORD
	v_sub_u32_sdwa v4, v4, v36 dst_sel:DWORD dst_unused:UNUSED_PAD src0_sel:BYTE_3 src1_sel:DWORD
	v_sub_u32_sdwa v17, v5, v35 dst_sel:DWORD dst_unused:UNUSED_PAD src0_sel:BYTE_2 src1_sel:DWORD
	v_sub_u32_sdwa v5, v5, v35 dst_sel:DWORD dst_unused:UNUSED_PAD src0_sel:BYTE_3 src1_sel:DWORD
	v_sub_u32_sdwa v6, v6, v34 dst_sel:DWORD dst_unused:UNUSED_PAD src0_sel:BYTE_3 src1_sel:DWORD
	v_cvt_f32_i32_e32 v8, v8
	v_cvt_f32_i32_e32 v9, v9
	s_waitcnt vmcnt(1)
	v_sub_u32_sdwa v38, v0, v36 dst_sel:DWORD dst_unused:UNUSED_PAD src0_sel:BYTE_0 src1_sel:DWORD
	v_sub_u32_sdwa v39, v0, v36 dst_sel:DWORD dst_unused:UNUSED_PAD src0_sel:BYTE_1 src1_sel:DWORD
	v_sub_u32_sdwa v40, v0, v36 dst_sel:DWORD dst_unused:UNUSED_PAD src0_sel:BYTE_2 src1_sel:DWORD
	v_sub_u32_sdwa v0, v0, v36 dst_sel:DWORD dst_unused:UNUSED_PAD src0_sel:BYTE_3 src1_sel:DWORD
	v_cvt_f32_i32_e32 v12, v12
	v_cvt_f32_i32_e32 v16, v16
	v_sub_u32_sdwa v36, v1, v35 dst_sel:DWORD dst_unused:UNUSED_PAD src0_sel:BYTE_0 src1_sel:DWORD
	v_sub_u32_sdwa v41, v1, v35 dst_sel:DWORD dst_unused:UNUSED_PAD src0_sel:BYTE_1 src1_sel:DWORD
	v_sub_u32_sdwa v42, v1, v35 dst_sel:DWORD dst_unused:UNUSED_PAD src0_sel:BYTE_2 src1_sel:DWORD
	v_sub_u32_sdwa v1, v1, v35 dst_sel:DWORD dst_unused:UNUSED_PAD src0_sel:BYTE_3 src1_sel:DWORD
	v_cvt_f32_i32_e32 v18, v18
	v_cvt_f32_i32_e32 v19, v19
	;; [unrolled: 1-line block ×3, first 2 shown]
	v_sub_u32_sdwa v37, v2, v34 dst_sel:DWORD dst_unused:UNUSED_PAD src0_sel:BYTE_0 src1_sel:DWORD
	v_sub_u32_sdwa v43, v2, v34 dst_sel:DWORD dst_unused:UNUSED_PAD src0_sel:BYTE_1 src1_sel:DWORD
	v_cvt_f32_i32_e32 v11, v11
	v_cvt_f32_i32_e32 v4, v4
	;; [unrolled: 1-line block ×5, first 2 shown]
	v_sub_u32_sdwa v44, v2, v34 dst_sel:DWORD dst_unused:UNUSED_PAD src0_sel:BYTE_2 src1_sel:DWORD
	v_sub_u32_sdwa v2, v2, v34 dst_sel:DWORD dst_unused:UNUSED_PAD src0_sel:BYTE_3 src1_sel:DWORD
	v_cvt_f32_i32_e32 v34, v38
	v_cvt_f32_i32_e32 v38, v39
	;; [unrolled: 1-line block ×8, first 2 shown]
	v_cvt_f16_f32_e32 v8, v8
	v_cvt_f16_f32_e32 v9, v9
	;; [unrolled: 1-line block ×18, first 2 shown]
	v_pack_b32_f16 v8, v8, v9
	v_pack_b32_f16 v9, v12, v16
	;; [unrolled: 1-line block ×3, first 2 shown]
	v_sub_u32_sdwa v18, v7, v33 dst_sel:DWORD dst_unused:UNUSED_PAD src0_sel:BYTE_0 src1_sel:DWORD
	v_sub_u32_sdwa v19, v7, v33 dst_sel:DWORD dst_unused:UNUSED_PAD src0_sel:BYTE_1 src1_sel:DWORD
	v_pack_b32_f16 v4, v11, v4
	v_pack_b32_f16 v5, v17, v5
	;; [unrolled: 1-line block ×6, first 2 shown]
	v_cvt_f32_i32_e32 v18, v18
	v_cvt_f32_i32_e32 v19, v19
	v_sub_u32_sdwa v34, v7, v33 dst_sel:DWORD dst_unused:UNUSED_PAD src0_sel:BYTE_2 src1_sel:DWORD
	v_sub_u32_sdwa v7, v7, v33 dst_sel:DWORD dst_unused:UNUSED_PAD src0_sel:BYTE_3 src1_sel:DWORD
	v_sub_u32_sdwa v35, v3, v33 dst_sel:DWORD dst_unused:UNUSED_PAD src0_sel:BYTE_0 src1_sel:DWORD
	v_sub_u32_sdwa v36, v3, v33 dst_sel:DWORD dst_unused:UNUSED_PAD src0_sel:BYTE_1 src1_sel:DWORD
	v_sub_u32_sdwa v37, v3, v33 dst_sel:DWORD dst_unused:UNUSED_PAD src0_sel:BYTE_2 src1_sel:DWORD
	v_sub_u32_sdwa v3, v3, v33 dst_sel:DWORD dst_unused:UNUSED_PAD src0_sel:BYTE_3 src1_sel:DWORD
	v_cvt_f32_i32_e32 v1, v1
	v_cvt_f32_i32_e32 v34, v34
	;; [unrolled: 1-line block ×10, first 2 shown]
	v_cvt_f16_f32_e32 v18, v18
	v_cvt_f16_f32_e32 v19, v19
	;; [unrolled: 1-line block ×14, first 2 shown]
	v_pack_b32_f16 v18, v18, v19
	v_pack_b32_f16 v1, v41, v1
	;; [unrolled: 1-line block ×5, first 2 shown]
	v_pk_mul_f16 v34, v25, v9
	v_pk_mul_f16 v38, v24, v16
	;; [unrolled: 1-line block ×3, first 2 shown]
	v_pack_b32_f16 v0, v39, v0
	v_pack_b32_f16 v2, v43, v2
	v_pk_mul_f16 v37, v26, v8
	v_lshlrev_b32_e32 v8, 16, v16
	v_lshlrev_b32_e32 v35, 16, v34
	v_pk_mul_f16 v36, v25, v5
	v_pk_mul_f16 v19, v24, v6
	;; [unrolled: 1-line block ×12, first 2 shown]
	v_or_b32_sdwa v9, v8, v38 dst_sel:DWORD dst_unused:UNUSED_PAD src0_sel:DWORD src1_sel:WORD_0
	v_or_b32_sdwa v8, v35, v37 dst_sel:DWORD dst_unused:UNUSED_PAD src0_sel:DWORD src1_sel:WORD_0
	v_and_b32_e32 v43, 0xffff0000, v16
	v_and_b32_e32 v44, 0xffff0000, v34
	v_lshlrev_b32_e32 v41, 16, v39
	v_lshlrev_b32_e32 v42, 16, v36
	v_and_b32_e32 v39, 0xffff0000, v39
	v_and_b32_e32 v40, 0xffff0000, v36
	v_lshlrev_b32_e32 v35, 16, v17
	v_lshlrev_b32_e32 v36, 16, v45
	v_and_b32_e32 v33, 0xffff0000, v17
	v_and_b32_e32 v34, 0xffff0000, v45
	v_lshlrev_b32_e32 v16, 16, v7
	v_lshlrev_b32_e32 v17, 16, v6
	s_cbranch_vccnz .LBB0_24
; %bb.20:                               ;   in Loop: Header=BB0_8 Depth=1
	v_mov_b32_e32 v0, s4
	ds_read_b128 v[46:49], v0 offset:96
	ds_read_b128 v[0:3], v0 offset:112
	s_waitcnt lgkmcnt(1)
	v_mul_lo_u32 v45, v46, s22
	v_mul_lo_u32 v46, v47, s5
	v_add_u32_e32 v50, v45, v10
	v_add_u32_e32 v46, v46, v13
	v_ashrrev_i32_e32 v51, 31, v50
	v_ashrrev_i32_e32 v47, 31, v46
	v_lshl_add_u64 v[50:51], v[50:51], 1, s[14:15]
	global_store_dwordx2 v[50:51], v[8:9], off
	v_lshl_add_u64 v[46:47], v[46:47], 1, s[14:15]
	v_or_b32_sdwa v51, v43, v38 dst_sel:DWORD dst_unused:UNUSED_PAD src0_sel:DWORD src1_sel:WORD_1
	v_or_b32_sdwa v50, v44, v37 dst_sel:DWORD dst_unused:UNUSED_PAD src0_sel:DWORD src1_sel:WORD_1
	v_mul_lo_u32 v45, v48, s22
	global_store_dwordx2 v[46:47], v[50:51], off
	v_mul_lo_u32 v48, v49, s5
	v_add_u32_e32 v50, v45, v10
	v_add_u32_e32 v48, v48, v13
	v_ashrrev_i32_e32 v51, 31, v50
	v_or_b32_sdwa v47, v41, v19 dst_sel:DWORD dst_unused:UNUSED_PAD src0_sel:DWORD src1_sel:WORD_0
	v_or_b32_sdwa v46, v42, v18 dst_sel:DWORD dst_unused:UNUSED_PAD src0_sel:DWORD src1_sel:WORD_0
	v_lshl_add_u64 v[50:51], v[50:51], 1, s[14:15]
	v_ashrrev_i32_e32 v49, 31, v48
	global_store_dwordx2 v[50:51], v[46:47], off
	v_lshl_add_u64 v[46:47], v[48:49], 1, s[14:15]
	v_or_b32_sdwa v49, v39, v19 dst_sel:DWORD dst_unused:UNUSED_PAD src0_sel:DWORD src1_sel:WORD_1
	v_or_b32_sdwa v48, v40, v18 dst_sel:DWORD dst_unused:UNUSED_PAD src0_sel:DWORD src1_sel:WORD_1
	s_waitcnt lgkmcnt(0)
	v_mul_lo_u32 v45, v0, s22
	global_store_dwordx2 v[46:47], v[48:49], off
	v_mul_lo_u32 v0, v1, s5
	v_add_u32_e32 v48, v45, v10
	v_add_u32_e32 v0, v0, v13
	v_ashrrev_i32_e32 v49, 31, v48
	v_or_b32_sdwa v47, v35, v12 dst_sel:DWORD dst_unused:UNUSED_PAD src0_sel:DWORD src1_sel:WORD_0
	v_or_b32_sdwa v46, v36, v11 dst_sel:DWORD dst_unused:UNUSED_PAD src0_sel:DWORD src1_sel:WORD_0
	v_lshl_add_u64 v[48:49], v[48:49], 1, s[14:15]
	v_ashrrev_i32_e32 v1, 31, v0
	global_store_dwordx2 v[48:49], v[46:47], off
	v_lshl_add_u64 v[0:1], v[0:1], 1, s[14:15]
	v_or_b32_sdwa v47, v33, v12 dst_sel:DWORD dst_unused:UNUSED_PAD src0_sel:DWORD src1_sel:WORD_1
	v_or_b32_sdwa v46, v34, v11 dst_sel:DWORD dst_unused:UNUSED_PAD src0_sel:DWORD src1_sel:WORD_1
	global_store_dwordx2 v[0:1], v[46:47], off
	v_mul_lo_u32 v0, v2, s5
	v_add_u32_e32 v0, v0, v10
	v_ashrrev_i32_e32 v1, 31, v0
	v_lshl_add_u64 v[0:1], v[0:1], 1, s[14:15]
	v_or_b32_sdwa v47, v16, v5 dst_sel:DWORD dst_unused:UNUSED_PAD src0_sel:DWORD src1_sel:WORD_0
	v_or_b32_sdwa v46, v17, v4 dst_sel:DWORD dst_unused:UNUSED_PAD src0_sel:DWORD src1_sel:WORD_0
	global_store_dwordx2 v[0:1], v[46:47], off
	s_cbranch_execnz .LBB0_7
	s_branch .LBB0_25
.LBB0_21:                               ;   in Loop: Header=BB0_8 Depth=1
                                        ; implicit-def: $vgpr9
	s_branch .LBB0_12
.LBB0_22:                               ;   in Loop: Header=BB0_8 Depth=1
                                        ; implicit-def: $vgpr9
	s_branch .LBB0_15
.LBB0_23:                               ;   in Loop: Header=BB0_8 Depth=1
                                        ; implicit-def: $vgpr9
	s_branch .LBB0_18
.LBB0_24:                               ;   in Loop: Header=BB0_8 Depth=1
                                        ; implicit-def: $vgpr3
.LBB0_25:                               ;   in Loop: Header=BB0_8 Depth=1
	v_add_u32_e32 v0, s31, v20
	v_ashrrev_i32_e32 v1, 31, v0
	v_lshl_add_u64 v[0:1], v[0:1], 1, s[14:15]
	global_store_dwordx2 v[0:1], v[8:9], off
	v_add_u32_e32 v0, s30, v20
	v_ashrrev_i32_e32 v1, 31, v0
	v_lshl_add_u64 v[0:1], v[0:1], 1, s[14:15]
	v_or_b32_sdwa v3, v43, v38 dst_sel:DWORD dst_unused:UNUSED_PAD src0_sel:DWORD src1_sel:WORD_1
	v_or_b32_sdwa v2, v44, v37 dst_sel:DWORD dst_unused:UNUSED_PAD src0_sel:DWORD src1_sel:WORD_1
	global_store_dwordx2 v[0:1], v[2:3], off
	v_add_u32_e32 v0, s28, v20
	v_ashrrev_i32_e32 v1, 31, v0
	v_lshl_add_u64 v[0:1], v[0:1], 1, s[14:15]
	v_or_b32_sdwa v3, v41, v19 dst_sel:DWORD dst_unused:UNUSED_PAD src0_sel:DWORD src1_sel:WORD_0
	v_or_b32_sdwa v2, v42, v18 dst_sel:DWORD dst_unused:UNUSED_PAD src0_sel:DWORD src1_sel:WORD_0
	global_store_dwordx2 v[0:1], v[2:3], off
	v_add_u32_e32 v0, s29, v20
	v_ashrrev_i32_e32 v1, 31, v0
	v_lshl_add_u64 v[0:1], v[0:1], 1, s[14:15]
	v_or_b32_sdwa v3, v39, v19 dst_sel:DWORD dst_unused:UNUSED_PAD src0_sel:DWORD src1_sel:WORD_1
	v_or_b32_sdwa v2, v40, v18 dst_sel:DWORD dst_unused:UNUSED_PAD src0_sel:DWORD src1_sel:WORD_1
	global_store_dwordx2 v[0:1], v[2:3], off
	v_add_u32_e32 v0, s26, v20
	v_ashrrev_i32_e32 v1, 31, v0
	v_lshl_add_u64 v[0:1], v[0:1], 1, s[14:15]
	v_or_b32_sdwa v3, v35, v12 dst_sel:DWORD dst_unused:UNUSED_PAD src0_sel:DWORD src1_sel:WORD_0
	v_or_b32_sdwa v2, v36, v11 dst_sel:DWORD dst_unused:UNUSED_PAD src0_sel:DWORD src1_sel:WORD_0
	;; [unrolled: 12-line block ×3, first 2 shown]
	s_add_i32 s0, s18, 31
	global_store_dwordx2 v[0:1], v[2:3], off
	v_mov_b32_e32 v3, s0
	s_branch .LBB0_7
.LBB0_26:
	s_endpgm
	.section	.rodata,"a",@progbits
	.p2align	6, 0x0
	.amdhsa_kernel _ZN4vllm4gptq31reconstruct_exllama_8bit_kernelEPKjPKiS2_PK6__halfiiibPS5_
		.amdhsa_group_segment_fixed_size 512
		.amdhsa_private_segment_fixed_size 0
		.amdhsa_kernarg_size 56
		.amdhsa_user_sgpr_count 2
		.amdhsa_user_sgpr_dispatch_ptr 0
		.amdhsa_user_sgpr_queue_ptr 0
		.amdhsa_user_sgpr_kernarg_segment_ptr 1
		.amdhsa_user_sgpr_dispatch_id 0
		.amdhsa_user_sgpr_kernarg_preload_length 0
		.amdhsa_user_sgpr_kernarg_preload_offset 0
		.amdhsa_user_sgpr_private_segment_size 0
		.amdhsa_uses_dynamic_stack 0
		.amdhsa_enable_private_segment 0
		.amdhsa_system_sgpr_workgroup_id_x 1
		.amdhsa_system_sgpr_workgroup_id_y 1
		.amdhsa_system_sgpr_workgroup_id_z 0
		.amdhsa_system_sgpr_workgroup_info 0
		.amdhsa_system_vgpr_workitem_id 0
		.amdhsa_next_free_vgpr 58
		.amdhsa_next_free_sgpr 54
		.amdhsa_accum_offset 60
		.amdhsa_reserve_vcc 1
		.amdhsa_float_round_mode_32 0
		.amdhsa_float_round_mode_16_64 0
		.amdhsa_float_denorm_mode_32 3
		.amdhsa_float_denorm_mode_16_64 3
		.amdhsa_dx10_clamp 1
		.amdhsa_ieee_mode 1
		.amdhsa_fp16_overflow 0
		.amdhsa_tg_split 0
		.amdhsa_exception_fp_ieee_invalid_op 0
		.amdhsa_exception_fp_denorm_src 0
		.amdhsa_exception_fp_ieee_div_zero 0
		.amdhsa_exception_fp_ieee_overflow 0
		.amdhsa_exception_fp_ieee_underflow 0
		.amdhsa_exception_fp_ieee_inexact 0
		.amdhsa_exception_int_div_zero 0
	.end_amdhsa_kernel
	.text
.Lfunc_end0:
	.size	_ZN4vllm4gptq31reconstruct_exllama_8bit_kernelEPKjPKiS2_PK6__halfiiibPS5_, .Lfunc_end0-_ZN4vllm4gptq31reconstruct_exllama_8bit_kernelEPKjPKiS2_PK6__halfiiibPS5_
                                        ; -- End function
	.set _ZN4vllm4gptq31reconstruct_exllama_8bit_kernelEPKjPKiS2_PK6__halfiiibPS5_.num_vgpr, 58
	.set _ZN4vllm4gptq31reconstruct_exllama_8bit_kernelEPKjPKiS2_PK6__halfiiibPS5_.num_agpr, 0
	.set _ZN4vllm4gptq31reconstruct_exllama_8bit_kernelEPKjPKiS2_PK6__halfiiibPS5_.numbered_sgpr, 54
	.set _ZN4vllm4gptq31reconstruct_exllama_8bit_kernelEPKjPKiS2_PK6__halfiiibPS5_.num_named_barrier, 0
	.set _ZN4vllm4gptq31reconstruct_exllama_8bit_kernelEPKjPKiS2_PK6__halfiiibPS5_.private_seg_size, 0
	.set _ZN4vllm4gptq31reconstruct_exllama_8bit_kernelEPKjPKiS2_PK6__halfiiibPS5_.uses_vcc, 1
	.set _ZN4vllm4gptq31reconstruct_exllama_8bit_kernelEPKjPKiS2_PK6__halfiiibPS5_.uses_flat_scratch, 0
	.set _ZN4vllm4gptq31reconstruct_exllama_8bit_kernelEPKjPKiS2_PK6__halfiiibPS5_.has_dyn_sized_stack, 0
	.set _ZN4vllm4gptq31reconstruct_exllama_8bit_kernelEPKjPKiS2_PK6__halfiiibPS5_.has_recursion, 0
	.set _ZN4vllm4gptq31reconstruct_exllama_8bit_kernelEPKjPKiS2_PK6__halfiiibPS5_.has_indirect_call, 0
	.section	.AMDGPU.csdata,"",@progbits
; Kernel info:
; codeLenInByte = 7704
; TotalNumSgprs: 60
; NumVgprs: 58
; NumAgprs: 0
; TotalNumVgprs: 58
; ScratchSize: 0
; MemoryBound: 0
; FloatMode: 240
; IeeeMode: 1
; LDSByteSize: 512 bytes/workgroup (compile time only)
; SGPRBlocks: 7
; VGPRBlocks: 7
; NumSGPRsForWavesPerEU: 60
; NumVGPRsForWavesPerEU: 58
; AccumOffset: 60
; Occupancy: 8
; WaveLimiterHint : 0
; COMPUTE_PGM_RSRC2:SCRATCH_EN: 0
; COMPUTE_PGM_RSRC2:USER_SGPR: 2
; COMPUTE_PGM_RSRC2:TRAP_HANDLER: 0
; COMPUTE_PGM_RSRC2:TGID_X_EN: 1
; COMPUTE_PGM_RSRC2:TGID_Y_EN: 1
; COMPUTE_PGM_RSRC2:TGID_Z_EN: 0
; COMPUTE_PGM_RSRC2:TIDIG_COMP_CNT: 0
; COMPUTE_PGM_RSRC3_GFX90A:ACCUM_OFFSET: 14
; COMPUTE_PGM_RSRC3_GFX90A:TG_SPLIT: 0
	.text
	.protected	_ZN4vllm4gptq31reconstruct_exllama_4bit_kernelEPKjPKiS2_PK6__halfiiibPS5_ ; -- Begin function _ZN4vllm4gptq31reconstruct_exllama_4bit_kernelEPKjPKiS2_PK6__halfiiibPS5_
	.globl	_ZN4vllm4gptq31reconstruct_exllama_4bit_kernelEPKjPKiS2_PK6__halfiiibPS5_
	.p2align	8
	.type	_ZN4vllm4gptq31reconstruct_exllama_4bit_kernelEPKjPKiS2_PK6__halfiiibPS5_,@function
_ZN4vllm4gptq31reconstruct_exllama_4bit_kernelEPKjPKiS2_PK6__halfiiibPS5_: ; @_ZN4vllm4gptq31reconstruct_exllama_4bit_kernelEPKjPKiS2_PK6__halfiiibPS5_
; %bb.0:
	s_load_dwordx2 s[8:9], s[0:1], 0x8
	s_load_dwordx4 s[4:7], s[0:1], 0x20
	s_lshl_b32 s18, s3, 7
	s_waitcnt lgkmcnt(0)
	s_cmp_lg_u64 s[8:9], 0
	s_cselect_b64 s[12:13], -1, 0
	s_cmp_eq_u64 s[8:9], 0
	s_cbranch_scc1 .LBB1_4
; %bb.1:
	v_add_u32_e32 v2, s18, v0
	v_cmp_gt_u32_e32 vcc, s4, v2
	s_and_saveexec_b64 s[10:11], vcc
	s_cbranch_execz .LBB1_3
; %bb.2:
	v_mov_b32_e32 v3, 0
	v_lshl_add_u64 v[2:3], v[2:3], 2, s[8:9]
	global_load_dword v1, v[2:3], off
	v_lshlrev_b32_e32 v2, 2, v0
	s_waitcnt vmcnt(0)
	ds_write_b32 v2, v1
.LBB1_3:
	s_or_b64 exec, exec, s[10:11]
.LBB1_4:
	s_lshl_b32 s2, s2, 9
	v_lshlrev_b32_e32 v20, 2, v0
	v_add_u32_e32 v4, s2, v20
	v_cmp_gt_i32_e32 vcc, s5, v4
	s_and_saveexec_b64 s[8:9], vcc
	s_cbranch_execz .LBB1_26
; %bb.5:
	s_abs_i32 s8, s6
	v_cvt_f32_u32_e32 v1, s8
	s_sub_i32 s11, 0, s8
	s_abs_i32 s10, s4
	s_xor_b32 s6, s4, s6
	v_rcp_iflag_f32_e32 v1, v1
	s_add_i32 s9, s18, 0x80
	s_ashr_i32 s6, s6, 31
	v_cvt_f64_i32_e32 v[2:3], s4
	v_mul_f32_e32 v1, 0x4f7ffffe, v1
	v_cvt_u32_f32_e32 v1, v1
	v_cvt_f64_u32_e32 v[6:7], s9
	v_min_f64 v[2:3], v[6:7], v[2:3]
	v_cvt_i32_f64_e32 v21, v[2:3]
	v_readfirstlane_b32 s14, v1
	s_mul_i32 s11, s11, s14
	s_mul_hi_u32 s11, s14, s11
	s_add_i32 s14, s14, s11
	s_mul_hi_u32 s11, s10, s14
	s_mul_i32 s14, s11, s8
	s_sub_i32 s10, s10, s14
	s_add_i32 s15, s11, 1
	s_sub_i32 s14, s10, s8
	s_cmp_ge_u32 s10, s8
	s_cselect_b32 s11, s15, s11
	s_cselect_b32 s10, s14, s10
	s_add_i32 s14, s11, 1
	s_cmp_ge_u32 s10, s8
	s_cselect_b32 s8, s14, s11
	s_xor_b32 s8, s8, s6
	s_sub_i32 s19, s8, s6
	v_cvt_f32_u32_e32 v1, s19
	v_cmp_ge_i32_e32 vcc, s18, v21
	s_mov_b32 s4, 0
	s_and_b64 vcc, exec, vcc
	v_rcp_iflag_f32_e32 v1, v1
	s_waitcnt lgkmcnt(0)
	s_barrier
	v_mul_f32_e32 v1, 0x4f7ffffe, v1
	v_cvt_u32_f32_e32 v1, v1
	s_nop 0
	v_readfirstlane_b32 s6, v1
	s_cbranch_vccnz .LBB1_26
; %bb.6:
	s_sub_i32 s14, 0, s19
	s_mul_i32 s14, s14, s6
	s_mul_hi_u32 s14, s6, s14
	s_add_i32 s6, s6, s14
	s_mul_hi_u32 s6, s18, s6
	s_mul_i32 s14, s6, s19
	s_sub_i32 s14, s18, s14
	s_add_i32 s15, s6, 1
	s_sub_i32 s16, s14, s19
	s_cmp_ge_u32 s14, s19
	s_cselect_b32 s6, s15, s6
	s_cselect_b32 s14, s16, s14
	s_add_i32 s15, s6, 1
	s_cmp_ge_u32 s14, s19
	s_cselect_b32 s20, s15, s6
	s_mul_i32 s6, s20, s5
	s_ashr_i32 s14, s6, 31
	v_ashrrev_i32_e32 v5, 31, v4
	s_load_dwordx4 s[8:11], s[0:1], 0x10
	s_lshr_b32 s14, s14, 29
	v_lshrrev_b32_e32 v1, 29, v5
	s_add_i32 s14, s6, s14
	v_add_u32_e32 v1, v4, v1
	s_ashr_i32 s14, s14, 3
	v_ashrrev_i32_e32 v22, 3, v1
	v_add_u32_e32 v6, s14, v22
	v_add_u32_e32 v2, s6, v4
	v_ashrrev_i32_e32 v7, 31, v6
	v_ashrrev_i32_e32 v3, 31, v2
	s_waitcnt lgkmcnt(0)
	v_lshl_add_u64 v[6:7], v[6:7], 2, s[8:9]
	v_lshl_add_u64 v[2:3], v[2:3], 1, s[10:11]
	global_load_dword v1, v[6:7], off
	s_bitcmp1_b32 s7, 0
	global_load_dwordx2 v[2:3], v[2:3], off
	s_cselect_b64 s[6:7], -1, 0
	s_load_dwordx2 s[16:17], s[0:1], 0x0
	s_load_dwordx2 s[14:15], s[0:1], 0x30
	s_lshr_b32 s1, s18, 3
	s_xor_b64 s[6:7], s[6:7], -1
	v_cndmask_b32_e64 v25, 0, 1, s[6:7]
	s_mul_i32 s6, s5, s1
	s_ashr_i32 s7, s6, 31
	s_lshl_b64 s[6:7], s[6:7], 2
	s_waitcnt lgkmcnt(0)
	s_add_u32 s6, s16, s6
	s_addc_u32 s7, s17, s7
	s_add_i32 s16, s18, 30
	s_add_i32 s26, s18, 29
	;; [unrolled: 1-line block ×3, first 2 shown]
	s_mul_i32 s16, s5, s16
	s_mul_i32 s30, s5, s26
	s_add_i32 s26, s16, s2
	s_mul_i32 s16, s5, s33
	s_add_i32 s28, s18, 27
	s_add_i32 s33, s16, s2
	;; [unrolled: 1-line block ×3, first 2 shown]
	s_mul_i32 s34, s5, s28
	s_mul_i32 s16, s5, s16
	s_add_i32 s27, s18, 26
	s_add_i32 s29, s18, 25
	;; [unrolled: 1-line block ×6, first 2 shown]
	s_mul_i32 s31, s5, s27
	s_mul_i32 s35, s5, s29
	;; [unrolled: 1-line block ×3, first 2 shown]
	s_add_i32 s29, s31, s2
	s_add_i32 s31, s35, s2
	;; [unrolled: 1-line block ×4, first 2 shown]
	s_mul_i32 s16, s5, s16
	s_add_i32 s36, s16, s2
	s_add_i32 s16, s18, 18
	s_mul_i32 s16, s5, s16
	s_add_i32 s37, s16, s2
	s_add_i32 s16, s18, 19
	;; [unrolled: 3-line block ×12, first 2 shown]
	s_mul_i32 s16, s5, s16
	v_lshlrev_b32_e32 v0, 4, v0
	s_add_i32 s48, s16, s2
	s_add_i32 s16, s18, 4
	s_mov_b32 s21, 0x10001
	v_and_b32_e32 v24, 16, v0
	s_waitcnt vmcnt(1)
	v_lshrrev_b32_e32 v0, v0, v1
	s_mul_i32 s16, s5, s16
	s_waitcnt vmcnt(0)
	v_mul_u32_u24_sdwa v26, v3, s21 dst_sel:DWORD dst_unused:UNUSED_PAD src0_sel:WORD_1 src1_sel:DWORD
	v_mul_u32_u24_sdwa v27, v3, s21 dst_sel:DWORD dst_unused:UNUSED_PAD src0_sel:WORD_0 src1_sel:DWORD
	v_mul_u32_u24_sdwa v28, v2, s21 dst_sel:DWORD dst_unused:UNUSED_PAD src0_sel:WORD_1 src1_sel:DWORD
	v_mul_u32_u24_sdwa v29, v2, s21 dst_sel:DWORD dst_unused:UNUSED_PAD src0_sel:WORD_0 src1_sel:DWORD
	v_lshrrev_b32_e32 v1, 8, v0
	v_lshrrev_b32_e32 v2, 12, v0
	;; [unrolled: 1-line block ×3, first 2 shown]
	s_add_i32 s49, s16, s2
	s_add_i32 s16, s18, 5
	v_and_b32_e32 v0, 15, v0
	v_and_b32_e32 v1, 15, v1
	;; [unrolled: 1-line block ×4, first 2 shown]
	s_mul_i32 s16, s5, s16
	v_mov_b32_e32 v23, 0xe400e400
	v_add_u32_e32 v0, v0, v25
	v_add_u32_e32 v2, v2, v25
	;; [unrolled: 1-line block ×4, first 2 shown]
	s_add_i32 s50, s16, s2
	s_add_i32 s16, s18, 2
	s_mul_i32 s3, s3, s5
	v_lshl_add_u64 v[8:9], v[4:5], 2, s[6:7]
	v_cvt_f32_ubyte0_e32 v5, v0
	v_mad_u32_u24 v30, v0, s21, v23
	v_cvt_f32_ubyte0_e32 v0, v1
	v_cvt_f32_ubyte0_e32 v6, v2
	v_mad_u32_u24 v31, v1, s21, v23
	v_cvt_f32_ubyte0_e32 v1, v3
	s_mul_i32 s16, s5, s16
	s_lshl_b32 s3, s3, 7
	s_mov_b32 s22, 0xd400
	s_add_i32 s17, s18, 28
	v_cvt_pk_f16_f32 v0, v6, v0
	v_cvt_pk_f16_f32 v1, v1, v5
	s_add_i32 s51, s16, s2
	s_add_i32 s16, s18, 3
	;; [unrolled: 1-line block ×4, first 2 shown]
	s_mov_b32 s0, s5
	s_ashr_i32 s1, s5, 31
	s_mul_i32 s17, s5, s17
	v_pk_add_f16 v0, v0, s22 op_sel_hi:[1,0] neg_lo:[1,0] neg_hi:[1,0]
	v_pk_add_f16 v1, v1, s22 op_sel_hi:[1,0] neg_lo:[1,0] neg_hi:[1,0]
	s_mul_i32 s16, s5, s16
	s_mul_i32 s3, s5, s3
	s_mov_b32 s23, s5
	v_mov_b32_e32 v7, v4
	s_add_i32 s24, s19, s18
	s_lshl_b32 s25, s5, 5
	s_lshl_b64 s[6:7], s[0:1], 4
	s_add_i32 s27, s17, s2
	v_mad_u32_u24 v33, v2, s21, v23
	v_mad_u32_u24 v32, v3, s21, v23
	v_mul_u32_u24_sdwa v6, v0, s21 dst_sel:DWORD dst_unused:UNUSED_PAD src0_sel:WORD_0 src1_sel:DWORD
	v_mul_u32_u24_sdwa v5, v0, s21 dst_sel:DWORD dst_unused:UNUSED_PAD src0_sel:WORD_1 src1_sel:DWORD
	v_mul_u32_u24_sdwa v10, v1, s21 dst_sel:DWORD dst_unused:UNUSED_PAD src0_sel:WORD_0 src1_sel:DWORD
	v_mul_u32_u24_sdwa v11, v1, s21 dst_sel:DWORD dst_unused:UNUSED_PAD src0_sel:WORD_1 src1_sel:DWORD
	s_add_i32 s52, s16, s2
	s_add_i32 s54, s3, s2
	s_lshl_b64 s[2:3], s[0:1], 2
	s_movk_i32 s55, 0x2c00
	s_branch .LBB1_8
.LBB1_7:                                ;   in Loop: Header=BB1_8 Depth=1
	v_mul_lo_u32 v0, v3, s5
	v_add_u32_e32 v0, v0, v4
	s_add_i32 s18, s18, 32
	v_and_b32_e32 v2, 0xffff0000, v15
	v_and_b32_e32 v14, 0xffff0000, v14
	v_ashrrev_i32_e32 v1, 31, v0
	v_cmp_lt_i32_e32 vcc, s18, v21
	v_lshl_add_u64 v[0:1], v[0:1], 1, s[14:15]
	v_or_b32_sdwa v3, v2, v13 dst_sel:DWORD dst_unused:UNUSED_PAD src0_sel:DWORD src1_sel:WORD_1
	v_or_b32_sdwa v2, v14, v12 dst_sel:DWORD dst_unused:UNUSED_PAD src0_sel:DWORD src1_sel:WORD_1
	v_lshl_add_u64 v[8:9], v[8:9], 0, s[6:7]
	s_addk_i32 s4, 0x80
	s_add_i32 s26, s26, s25
	s_add_i32 s27, s27, s25
	;; [unrolled: 1-line block ×28, first 2 shown]
	global_store_dwordx2 v[0:1], v[2:3], off
	s_cbranch_vccz .LBB1_26
.LBB1_8:                                ; =>This Inner Loop Header: Depth=1
	s_cmp_lg_u32 s18, s24
	s_cbranch_scc1 .LBB1_10
; %bb.9:                                ;   in Loop: Header=BB1_8 Depth=1
	s_add_i32 s20, s20, 1
	s_mul_i32 s0, s20, s5
	s_ashr_i32 s1, s0, 31
	s_lshr_b32 s1, s1, 29
	s_add_i32 s1, s0, s1
	s_ashr_i32 s1, s1, 3
	v_add_u32_e32 v0, s0, v4
	v_add_u32_e32 v2, s1, v22
	v_ashrrev_i32_e32 v1, 31, v0
	v_ashrrev_i32_e32 v3, 31, v2
	v_lshl_add_u64 v[0:1], v[0:1], 1, s[10:11]
	v_lshl_add_u64 v[2:3], v[2:3], 2, s[8:9]
	global_load_dwordx2 v[0:1], v[0:1], off
	s_add_i32 s24, s24, s19
	global_load_dword v2, v[2:3], off
	s_waitcnt vmcnt(1)
	v_mul_u32_u24_sdwa v29, v0, s21 dst_sel:DWORD dst_unused:UNUSED_PAD src0_sel:WORD_0 src1_sel:DWORD
	v_mul_u32_u24_sdwa v28, v0, s21 dst_sel:DWORD dst_unused:UNUSED_PAD src0_sel:WORD_1 src1_sel:DWORD
	s_waitcnt vmcnt(0)
	v_lshrrev_b32_e32 v0, v24, v2
	v_mul_u32_u24_sdwa v27, v1, s21 dst_sel:DWORD dst_unused:UNUSED_PAD src0_sel:WORD_0 src1_sel:DWORD
	v_mul_u32_u24_sdwa v26, v1, s21 dst_sel:DWORD dst_unused:UNUSED_PAD src0_sel:WORD_1 src1_sel:DWORD
	v_lshrrev_b32_e32 v1, 4, v0
	v_and_b32_e32 v2, 15, v0
	v_lshrrev_b32_e32 v3, 8, v0
	v_lshrrev_b32_e32 v0, 12, v0
	v_and_b32_e32 v1, 15, v1
	v_and_b32_e32 v3, 15, v3
	;; [unrolled: 1-line block ×3, first 2 shown]
	v_add_u32_e32 v2, v2, v25
	v_add_u32_e32 v1, v1, v25
	v_add_u32_e32 v0, v0, v25
	v_add_u32_e32 v3, v3, v25
	v_mad_u32_u24 v30, v2, s21, v23
	v_cvt_f32_ubyte0_e32 v2, v2
	v_cvt_f32_ubyte0_e32 v5, v1
	v_mad_u32_u24 v32, v1, s21, v23
	v_mad_u32_u24 v31, v3, s21, v23
	v_cvt_f32_ubyte0_e32 v1, v3
	v_cvt_f32_ubyte0_e32 v3, v0
	v_mad_u32_u24 v33, v0, s21, v23
	v_cvt_pk_f16_f32 v0, v5, v2
	v_cvt_pk_f16_f32 v1, v3, v1
	v_pk_add_f16 v0, v0, s22 op_sel_hi:[1,0] neg_lo:[1,0] neg_hi:[1,0]
	v_pk_add_f16 v1, v1, s22 op_sel_hi:[1,0] neg_lo:[1,0] neg_hi:[1,0]
	v_mul_u32_u24_sdwa v10, v0, s21 dst_sel:DWORD dst_unused:UNUSED_PAD src0_sel:WORD_0 src1_sel:DWORD
	v_mul_u32_u24_sdwa v11, v0, s21 dst_sel:DWORD dst_unused:UNUSED_PAD src0_sel:WORD_1 src1_sel:DWORD
	v_mul_u32_u24_sdwa v6, v1, s21 dst_sel:DWORD dst_unused:UNUSED_PAD src0_sel:WORD_0 src1_sel:DWORD
	v_mul_u32_u24_sdwa v5, v1, s21 dst_sel:DWORD dst_unused:UNUSED_PAD src0_sel:WORD_1 src1_sel:DWORD
.LBB1_10:                               ;   in Loop: Header=BB1_8 Depth=1
	global_load_dwordx4 v[0:3], v[8:9], off
	v_cndmask_b32_e64 v12, 0, 1, s[12:13]
	v_cmp_ne_u32_e64 s[0:1], 1, v12
	s_andn2_b64 vcc, exec, s[12:13]
	s_waitcnt vmcnt(0)
	v_and_b32_e32 v12, 0xf000f, v0
	v_and_b32_e32 v13, 0xf000f0, v0
	v_lshrrev_b32_e32 v0, 8, v0
	v_and_b32_e32 v14, 0xf000f, v1
	v_and_b32_e32 v15, 0xf000f0, v1
	v_lshrrev_b32_e32 v1, 8, v1
	;; [unrolled: 3-line block ×4, first 2 shown]
	v_or_b32_e32 v12, 0x64006400, v12
	v_and_b32_e32 v34, 0xf000f, v0
	v_or_b32_e32 v14, 0x64006400, v14
	v_and_b32_e32 v35, 0xf000f, v1
	v_and_b32_e32 v1, 0xf000f0, v1
	v_or_b32_e32 v18, 0x64006400, v18
	v_and_b32_e32 v37, 0xf000f, v3
	;; [unrolled: 3-line block ×3, first 2 shown]
	v_or_b32_e32 v15, 0x64006400, v15
	v_or_b32_e32 v16, 0x64006400, v16
	;; [unrolled: 1-line block ×3, first 2 shown]
	v_and_b32_e32 v36, 0xf000f, v2
	v_and_b32_e32 v2, 0xf000f0, v2
	v_or_b32_e32 v19, 0x64006400, v19
	v_or_b32_e32 v34, 0x64006400, v34
	v_pk_add_f16 v12, v30, v12
	v_or_b32_e32 v35, 0x64006400, v35
	v_or_b32_e32 v1, 0x64006400, v1
	v_pk_add_f16 v14, v32, v14
	;; [unrolled: 3-line block ×3, first 2 shown]
	v_or_b32_e32 v0, 0x64006400, v0
	v_pk_fma_f16 v13, v13, s55, v11 op_sel_hi:[1,0,1]
	v_pk_fma_f16 v15, v15, s55, v10 op_sel_hi:[1,0,1]
	v_or_b32_e32 v36, 0x64006400, v36
	v_or_b32_e32 v2, 0x64006400, v2
	v_pk_add_f16 v16, v31, v16
	v_pk_fma_f16 v17, v17, s55, v5 op_sel_hi:[1,0,1]
	v_pk_fma_f16 v19, v19, s55, v6 op_sel_hi:[1,0,1]
	v_pk_add_f16 v34, v30, v34
	v_pk_add_f16 v35, v32, v35
	v_pk_fma_f16 v1, v1, s55, v10 op_sel_hi:[1,0,1]
	v_pk_add_f16 v39, v33, v37
	v_pk_fma_f16 v3, v3, s55, v6 op_sel_hi:[1,0,1]
	v_pk_mul_f16 v40, v29, v12
	v_pk_mul_f16 v12, v28, v14
	;; [unrolled: 1-line block ×3, first 2 shown]
	v_pk_fma_f16 v0, v0, s55, v11 op_sel_hi:[1,0,1]
	v_pk_add_f16 v38, v31, v36
	v_pk_fma_f16 v2, v2, s55, v5 op_sel_hi:[1,0,1]
	v_pk_mul_f16 v43, v27, v16
	v_pk_mul_f16 v36, v29, v13
	;; [unrolled: 1-line block ×5, first 2 shown]
	v_lshlrev_b32_e32 v50, 16, v41
	v_lshlrev_b32_e32 v51, 16, v12
	v_pk_mul_f16 v18, v29, v34
	v_pk_mul_f16 v34, v28, v35
	;; [unrolled: 1-line block ×8, first 2 shown]
	v_and_b32_e32 v48, 0xffff0000, v41
	v_and_b32_e32 v49, 0xffff0000, v12
	v_lshlrev_b32_e32 v46, 16, v42
	v_lshlrev_b32_e32 v47, 16, v13
	v_and_b32_e32 v44, 0xffff0000, v42
	v_and_b32_e32 v45, 0xffff0000, v13
	v_or_b32_sdwa v13, v50, v43 dst_sel:DWORD dst_unused:UNUSED_PAD src0_sel:DWORD src1_sel:WORD_0
	v_or_b32_sdwa v12, v51, v40 dst_sel:DWORD dst_unused:UNUSED_PAD src0_sel:DWORD src1_sel:WORD_0
	v_lshlrev_b32_e32 v41, 16, v35
	v_lshlrev_b32_e32 v42, 16, v34
	v_and_b32_e32 v38, 0xffff0000, v35
	v_and_b32_e32 v39, 0xffff0000, v34
	v_lshlrev_b32_e32 v34, 16, v17
	v_lshlrev_b32_e32 v35, 16, v16
	s_cbranch_vccnz .LBB1_21
; %bb.11:                               ;   in Loop: Header=BB1_8 Depth=1
	v_mov_b32_e32 v0, s4
	ds_read_b128 v[50:53], v0
	ds_read_b128 v[0:3], v0 offset:16
	s_waitcnt lgkmcnt(1)
	v_mul_lo_u32 v54, v50, s23
	v_mul_lo_u32 v50, v51, s5
	v_add_u32_e32 v54, v54, v4
	v_add_u32_e32 v50, v50, v7
	v_ashrrev_i32_e32 v55, 31, v54
	v_ashrrev_i32_e32 v51, 31, v50
	v_lshl_add_u64 v[54:55], v[54:55], 1, s[14:15]
	global_store_dwordx2 v[54:55], v[12:13], off
	v_lshl_add_u64 v[50:51], v[50:51], 1, s[14:15]
	v_or_b32_sdwa v55, v48, v43 dst_sel:DWORD dst_unused:UNUSED_PAD src0_sel:DWORD src1_sel:WORD_1
	v_or_b32_sdwa v54, v49, v40 dst_sel:DWORD dst_unused:UNUSED_PAD src0_sel:DWORD src1_sel:WORD_1
	global_store_dwordx2 v[50:51], v[54:55], off
	v_mul_lo_u32 v54, v52, s23
	v_mul_lo_u32 v52, v53, s5
	v_add_u32_e32 v54, v54, v4
	v_add_u32_e32 v52, v52, v7
	v_ashrrev_i32_e32 v55, 31, v54
	v_or_b32_sdwa v51, v46, v37 dst_sel:DWORD dst_unused:UNUSED_PAD src0_sel:DWORD src1_sel:WORD_0
	v_or_b32_sdwa v50, v47, v36 dst_sel:DWORD dst_unused:UNUSED_PAD src0_sel:DWORD src1_sel:WORD_0
	v_lshl_add_u64 v[54:55], v[54:55], 1, s[14:15]
	v_ashrrev_i32_e32 v53, 31, v52
	global_store_dwordx2 v[54:55], v[50:51], off
	v_lshl_add_u64 v[50:51], v[52:53], 1, s[14:15]
	v_or_b32_sdwa v53, v44, v37 dst_sel:DWORD dst_unused:UNUSED_PAD src0_sel:DWORD src1_sel:WORD_1
	v_or_b32_sdwa v52, v45, v36 dst_sel:DWORD dst_unused:UNUSED_PAD src0_sel:DWORD src1_sel:WORD_1
	global_store_dwordx2 v[50:51], v[52:53], off
	s_waitcnt lgkmcnt(0)
	v_mul_lo_u32 v52, v0, s23
	v_mul_lo_u32 v0, v1, s5
	v_add_u32_e32 v52, v52, v4
	v_add_u32_e32 v0, v0, v7
	v_ashrrev_i32_e32 v53, 31, v52
	v_or_b32_sdwa v51, v41, v19 dst_sel:DWORD dst_unused:UNUSED_PAD src0_sel:DWORD src1_sel:WORD_0
	v_or_b32_sdwa v50, v42, v18 dst_sel:DWORD dst_unused:UNUSED_PAD src0_sel:DWORD src1_sel:WORD_0
	v_lshl_add_u64 v[52:53], v[52:53], 1, s[14:15]
	v_ashrrev_i32_e32 v1, 31, v0
	global_store_dwordx2 v[52:53], v[50:51], off
	v_lshl_add_u64 v[0:1], v[0:1], 1, s[14:15]
	v_or_b32_sdwa v51, v38, v19 dst_sel:DWORD dst_unused:UNUSED_PAD src0_sel:DWORD src1_sel:WORD_1
	v_or_b32_sdwa v50, v39, v18 dst_sel:DWORD dst_unused:UNUSED_PAD src0_sel:DWORD src1_sel:WORD_1
	global_store_dwordx2 v[0:1], v[50:51], off
	v_mul_lo_u32 v0, v2, s5
	v_add_u32_e32 v0, v0, v4
	v_ashrrev_i32_e32 v1, 31, v0
	v_lshl_add_u64 v[0:1], v[0:1], 1, s[14:15]
	v_or_b32_sdwa v51, v34, v15 dst_sel:DWORD dst_unused:UNUSED_PAD src0_sel:DWORD src1_sel:WORD_0
	v_or_b32_sdwa v50, v35, v14 dst_sel:DWORD dst_unused:UNUSED_PAD src0_sel:DWORD src1_sel:WORD_0
	global_store_dwordx2 v[0:1], v[50:51], off
	s_cbranch_execnz .LBB1_13
.LBB1_12:                               ;   in Loop: Header=BB1_8 Depth=1
	v_add_u32_e32 v0, s53, v20
	v_ashrrev_i32_e32 v1, 31, v0
	v_lshl_add_u64 v[0:1], v[0:1], 1, s[14:15]
	global_store_dwordx2 v[0:1], v[12:13], off
	v_add_u32_e32 v0, s54, v20
	v_ashrrev_i32_e32 v1, 31, v0
	v_lshl_add_u64 v[0:1], v[0:1], 1, s[14:15]
	v_or_b32_sdwa v3, v48, v43 dst_sel:DWORD dst_unused:UNUSED_PAD src0_sel:DWORD src1_sel:WORD_1
	v_or_b32_sdwa v2, v49, v40 dst_sel:DWORD dst_unused:UNUSED_PAD src0_sel:DWORD src1_sel:WORD_1
	global_store_dwordx2 v[0:1], v[2:3], off
	v_add_u32_e32 v0, s51, v20
	v_ashrrev_i32_e32 v1, 31, v0
	v_lshl_add_u64 v[0:1], v[0:1], 1, s[14:15]
	v_or_b32_sdwa v3, v46, v37 dst_sel:DWORD dst_unused:UNUSED_PAD src0_sel:DWORD src1_sel:WORD_0
	v_or_b32_sdwa v2, v47, v36 dst_sel:DWORD dst_unused:UNUSED_PAD src0_sel:DWORD src1_sel:WORD_0
	global_store_dwordx2 v[0:1], v[2:3], off
	v_add_u32_e32 v0, s52, v20
	v_ashrrev_i32_e32 v1, 31, v0
	v_lshl_add_u64 v[0:1], v[0:1], 1, s[14:15]
	v_or_b32_sdwa v3, v44, v37 dst_sel:DWORD dst_unused:UNUSED_PAD src0_sel:DWORD src1_sel:WORD_1
	v_or_b32_sdwa v2, v45, v36 dst_sel:DWORD dst_unused:UNUSED_PAD src0_sel:DWORD src1_sel:WORD_1
	global_store_dwordx2 v[0:1], v[2:3], off
	v_add_u32_e32 v0, s49, v20
	v_ashrrev_i32_e32 v1, 31, v0
	v_lshl_add_u64 v[0:1], v[0:1], 1, s[14:15]
	v_or_b32_sdwa v3, v41, v19 dst_sel:DWORD dst_unused:UNUSED_PAD src0_sel:DWORD src1_sel:WORD_0
	v_or_b32_sdwa v2, v42, v18 dst_sel:DWORD dst_unused:UNUSED_PAD src0_sel:DWORD src1_sel:WORD_0
	global_store_dwordx2 v[0:1], v[2:3], off
	v_add_u32_e32 v0, s50, v20
	v_ashrrev_i32_e32 v1, 31, v0
	v_lshl_add_u64 v[0:1], v[0:1], 1, s[14:15]
	v_or_b32_sdwa v3, v38, v19 dst_sel:DWORD dst_unused:UNUSED_PAD src0_sel:DWORD src1_sel:WORD_1
	v_or_b32_sdwa v2, v39, v18 dst_sel:DWORD dst_unused:UNUSED_PAD src0_sel:DWORD src1_sel:WORD_1
	global_store_dwordx2 v[0:1], v[2:3], off
	v_add_u32_e32 v0, s48, v20
	v_ashrrev_i32_e32 v1, 31, v0
	v_lshl_add_u64 v[0:1], v[0:1], 1, s[14:15]
	v_or_b32_sdwa v3, v34, v15 dst_sel:DWORD dst_unused:UNUSED_PAD src0_sel:DWORD src1_sel:WORD_0
	v_or_b32_sdwa v2, v35, v14 dst_sel:DWORD dst_unused:UNUSED_PAD src0_sel:DWORD src1_sel:WORD_0
	s_add_i32 s16, s18, 7
	global_store_dwordx2 v[0:1], v[2:3], off
	v_mov_b32_e32 v3, s16
.LBB1_13:                               ;   in Loop: Header=BB1_8 Depth=1
	v_lshl_add_u64 v[12:13], v[8:9], 0, s[2:3]
	global_load_dwordx4 v[34:37], v[12:13], off
	v_mul_lo_u32 v0, v3, s5
	v_and_b32_e32 v1, 0xffff0000, v17
	v_add_u32_e32 v0, v0, v4
	v_and_b32_e32 v2, 0xffff0000, v16
	v_or_b32_sdwa v3, v1, v15 dst_sel:DWORD dst_unused:UNUSED_PAD src0_sel:DWORD src1_sel:WORD_1
	v_ashrrev_i32_e32 v1, 31, v0
	v_or_b32_sdwa v2, v2, v14 dst_sel:DWORD dst_unused:UNUSED_PAD src0_sel:DWORD src1_sel:WORD_1
	v_lshl_add_u64 v[0:1], v[0:1], 1, s[14:15]
	global_store_dwordx2 v[0:1], v[2:3], off
	s_and_b64 vcc, exec, s[0:1]
	s_waitcnt vmcnt(1)
	v_and_b32_e32 v0, 0xf000f, v34
	v_lshrrev_b32_e32 v2, 8, v34
	v_and_b32_e32 v3, 0xf000f, v35
	v_and_b32_e32 v14, 0xf000f0, v35
	v_lshrrev_b32_e32 v15, 8, v35
	v_and_b32_e32 v19, 0xf000f, v37
	v_lshrrev_b32_e32 v35, 8, v37
	v_and_b32_e32 v1, 0xf000f0, v34
	v_and_b32_e32 v16, 0xf000f, v36
	;; [unrolled: 1-line block ×3, first 2 shown]
	v_lshrrev_b32_e32 v18, 8, v36
	v_and_b32_e32 v34, 0xf000f0, v37
	v_or_b32_e32 v0, 0x64006400, v0
	v_and_b32_e32 v36, 0xf000f, v2
	v_or_b32_e32 v3, 0x64006400, v3
	v_and_b32_e32 v37, 0xf000f, v15
	v_and_b32_e32 v15, 0xf000f0, v15
	v_or_b32_e32 v19, 0x64006400, v19
	v_and_b32_e32 v39, 0xf000f, v35
	;; [unrolled: 3-line block ×3, first 2 shown]
	v_or_b32_e32 v14, 0x64006400, v14
	v_or_b32_e32 v16, 0x64006400, v16
	;; [unrolled: 1-line block ×3, first 2 shown]
	v_and_b32_e32 v38, 0xf000f, v18
	v_and_b32_e32 v18, 0xf000f0, v18
	v_or_b32_e32 v34, 0x64006400, v34
	v_or_b32_e32 v36, 0x64006400, v36
	v_pk_add_f16 v0, v30, v0
	v_or_b32_e32 v37, 0x64006400, v37
	v_or_b32_e32 v15, 0x64006400, v15
	v_pk_add_f16 v3, v32, v3
	;; [unrolled: 3-line block ×3, first 2 shown]
	v_or_b32_e32 v2, 0x64006400, v2
	v_pk_fma_f16 v1, v1, s55, v11 op_sel_hi:[1,0,1]
	v_pk_fma_f16 v14, v14, s55, v10 op_sel_hi:[1,0,1]
	v_or_b32_e32 v38, 0x64006400, v38
	v_or_b32_e32 v18, 0x64006400, v18
	v_pk_add_f16 v16, v31, v16
	v_pk_fma_f16 v17, v17, s55, v5 op_sel_hi:[1,0,1]
	v_pk_fma_f16 v34, v34, s55, v6 op_sel_hi:[1,0,1]
	v_pk_add_f16 v36, v30, v36
	v_pk_add_f16 v37, v32, v37
	v_pk_fma_f16 v15, v15, s55, v10 op_sel_hi:[1,0,1]
	v_pk_add_f16 v41, v33, v39
	v_pk_fma_f16 v43, v35, s55, v6 op_sel_hi:[1,0,1]
	v_pk_mul_f16 v42, v29, v0
	v_pk_mul_f16 v0, v28, v3
	;; [unrolled: 1-line block ×3, first 2 shown]
	v_pk_fma_f16 v2, v2, s55, v11 op_sel_hi:[1,0,1]
	v_pk_add_f16 v40, v31, v38
	v_pk_fma_f16 v18, v18, s55, v5 op_sel_hi:[1,0,1]
	v_pk_mul_f16 v45, v27, v16
	v_pk_mul_f16 v38, v29, v1
	;; [unrolled: 1-line block ×5, first 2 shown]
	v_lshlrev_b32_e32 v19, 16, v3
	v_lshlrev_b32_e32 v46, 16, v0
	v_pk_mul_f16 v34, v29, v36
	v_pk_mul_f16 v36, v28, v37
	;; [unrolled: 1-line block ×8, first 2 shown]
	v_and_b32_e32 v50, 0xffff0000, v3
	v_and_b32_e32 v51, 0xffff0000, v0
	v_lshlrev_b32_e32 v48, 16, v44
	v_or_b32_sdwa v19, v19, v45 dst_sel:DWORD dst_unused:UNUSED_PAD src0_sel:DWORD src1_sel:WORD_0
	v_or_b32_sdwa v18, v46, v42 dst_sel:DWORD dst_unused:UNUSED_PAD src0_sel:DWORD src1_sel:WORD_0
	v_lshlrev_b32_e32 v49, 16, v1
	v_and_b32_e32 v46, 0xffff0000, v44
	v_and_b32_e32 v47, 0xffff0000, v1
	v_lshlrev_b32_e32 v43, 16, v37
	v_lshlrev_b32_e32 v44, 16, v36
	v_and_b32_e32 v40, 0xffff0000, v37
	v_and_b32_e32 v41, 0xffff0000, v36
	v_lshlrev_b32_e32 v36, 16, v17
	v_lshlrev_b32_e32 v37, 16, v16
	s_cbranch_vccnz .LBB1_22
; %bb.14:                               ;   in Loop: Header=BB1_8 Depth=1
	v_mov_b32_e32 v0, s4
	ds_read_b128 v[52:55], v0 offset:32
	ds_read_b128 v[0:3], v0 offset:48
	s_waitcnt lgkmcnt(1)
	v_mul_lo_u32 v56, v52, s23
	v_mul_lo_u32 v52, v53, s5
	v_add_u32_e32 v56, v56, v4
	v_add_u32_e32 v52, v52, v7
	v_ashrrev_i32_e32 v57, 31, v56
	v_ashrrev_i32_e32 v53, 31, v52
	v_lshl_add_u64 v[56:57], v[56:57], 1, s[14:15]
	global_store_dwordx2 v[56:57], v[18:19], off
	v_lshl_add_u64 v[52:53], v[52:53], 1, s[14:15]
	v_or_b32_sdwa v57, v50, v45 dst_sel:DWORD dst_unused:UNUSED_PAD src0_sel:DWORD src1_sel:WORD_1
	v_or_b32_sdwa v56, v51, v42 dst_sel:DWORD dst_unused:UNUSED_PAD src0_sel:DWORD src1_sel:WORD_1
	global_store_dwordx2 v[52:53], v[56:57], off
	v_mul_lo_u32 v56, v54, s23
	v_mul_lo_u32 v54, v55, s5
	v_add_u32_e32 v56, v56, v4
	v_add_u32_e32 v54, v54, v7
	v_ashrrev_i32_e32 v57, 31, v56
	v_or_b32_sdwa v53, v48, v39 dst_sel:DWORD dst_unused:UNUSED_PAD src0_sel:DWORD src1_sel:WORD_0
	v_or_b32_sdwa v52, v49, v38 dst_sel:DWORD dst_unused:UNUSED_PAD src0_sel:DWORD src1_sel:WORD_0
	v_lshl_add_u64 v[56:57], v[56:57], 1, s[14:15]
	v_ashrrev_i32_e32 v55, 31, v54
	global_store_dwordx2 v[56:57], v[52:53], off
	v_lshl_add_u64 v[52:53], v[54:55], 1, s[14:15]
	v_or_b32_sdwa v55, v46, v39 dst_sel:DWORD dst_unused:UNUSED_PAD src0_sel:DWORD src1_sel:WORD_1
	v_or_b32_sdwa v54, v47, v38 dst_sel:DWORD dst_unused:UNUSED_PAD src0_sel:DWORD src1_sel:WORD_1
	global_store_dwordx2 v[52:53], v[54:55], off
	s_waitcnt lgkmcnt(0)
	v_mul_lo_u32 v54, v0, s23
	v_mul_lo_u32 v0, v1, s5
	v_add_u32_e32 v54, v54, v4
	v_add_u32_e32 v0, v0, v7
	v_ashrrev_i32_e32 v55, 31, v54
	v_or_b32_sdwa v53, v43, v35 dst_sel:DWORD dst_unused:UNUSED_PAD src0_sel:DWORD src1_sel:WORD_0
	v_or_b32_sdwa v52, v44, v34 dst_sel:DWORD dst_unused:UNUSED_PAD src0_sel:DWORD src1_sel:WORD_0
	v_lshl_add_u64 v[54:55], v[54:55], 1, s[14:15]
	v_ashrrev_i32_e32 v1, 31, v0
	global_store_dwordx2 v[54:55], v[52:53], off
	v_lshl_add_u64 v[0:1], v[0:1], 1, s[14:15]
	v_or_b32_sdwa v53, v40, v35 dst_sel:DWORD dst_unused:UNUSED_PAD src0_sel:DWORD src1_sel:WORD_1
	v_or_b32_sdwa v52, v41, v34 dst_sel:DWORD dst_unused:UNUSED_PAD src0_sel:DWORD src1_sel:WORD_1
	global_store_dwordx2 v[0:1], v[52:53], off
	v_mul_lo_u32 v0, v2, s5
	v_add_u32_e32 v0, v0, v4
	v_ashrrev_i32_e32 v1, 31, v0
	v_lshl_add_u64 v[0:1], v[0:1], 1, s[14:15]
	v_or_b32_sdwa v53, v36, v15 dst_sel:DWORD dst_unused:UNUSED_PAD src0_sel:DWORD src1_sel:WORD_0
	v_or_b32_sdwa v52, v37, v14 dst_sel:DWORD dst_unused:UNUSED_PAD src0_sel:DWORD src1_sel:WORD_0
	global_store_dwordx2 v[0:1], v[52:53], off
	s_cbranch_execnz .LBB1_16
.LBB1_15:                               ;   in Loop: Header=BB1_8 Depth=1
	v_add_u32_e32 v0, s47, v20
	v_ashrrev_i32_e32 v1, 31, v0
	v_lshl_add_u64 v[0:1], v[0:1], 1, s[14:15]
	global_store_dwordx2 v[0:1], v[18:19], off
	v_add_u32_e32 v0, s46, v20
	v_ashrrev_i32_e32 v1, 31, v0
	v_lshl_add_u64 v[0:1], v[0:1], 1, s[14:15]
	v_or_b32_sdwa v3, v50, v45 dst_sel:DWORD dst_unused:UNUSED_PAD src0_sel:DWORD src1_sel:WORD_1
	v_or_b32_sdwa v2, v51, v42 dst_sel:DWORD dst_unused:UNUSED_PAD src0_sel:DWORD src1_sel:WORD_1
	global_store_dwordx2 v[0:1], v[2:3], off
	v_add_u32_e32 v0, s44, v20
	v_ashrrev_i32_e32 v1, 31, v0
	v_lshl_add_u64 v[0:1], v[0:1], 1, s[14:15]
	v_or_b32_sdwa v3, v48, v39 dst_sel:DWORD dst_unused:UNUSED_PAD src0_sel:DWORD src1_sel:WORD_0
	v_or_b32_sdwa v2, v49, v38 dst_sel:DWORD dst_unused:UNUSED_PAD src0_sel:DWORD src1_sel:WORD_0
	global_store_dwordx2 v[0:1], v[2:3], off
	v_add_u32_e32 v0, s45, v20
	v_ashrrev_i32_e32 v1, 31, v0
	v_lshl_add_u64 v[0:1], v[0:1], 1, s[14:15]
	v_or_b32_sdwa v3, v46, v39 dst_sel:DWORD dst_unused:UNUSED_PAD src0_sel:DWORD src1_sel:WORD_1
	v_or_b32_sdwa v2, v47, v38 dst_sel:DWORD dst_unused:UNUSED_PAD src0_sel:DWORD src1_sel:WORD_1
	global_store_dwordx2 v[0:1], v[2:3], off
	v_add_u32_e32 v0, s42, v20
	v_ashrrev_i32_e32 v1, 31, v0
	v_lshl_add_u64 v[0:1], v[0:1], 1, s[14:15]
	v_or_b32_sdwa v3, v43, v35 dst_sel:DWORD dst_unused:UNUSED_PAD src0_sel:DWORD src1_sel:WORD_0
	v_or_b32_sdwa v2, v44, v34 dst_sel:DWORD dst_unused:UNUSED_PAD src0_sel:DWORD src1_sel:WORD_0
	;; [unrolled: 12-line block ×3, first 2 shown]
	s_add_i32 s16, s18, 15
	global_store_dwordx2 v[0:1], v[2:3], off
	v_mov_b32_e32 v3, s16
.LBB1_16:                               ;   in Loop: Header=BB1_8 Depth=1
	v_lshl_add_u64 v[12:13], v[12:13], 0, s[2:3]
	global_load_dwordx4 v[34:37], v[12:13], off
	v_mul_lo_u32 v0, v3, s5
	v_and_b32_e32 v1, 0xffff0000, v17
	v_add_u32_e32 v0, v0, v4
	v_and_b32_e32 v2, 0xffff0000, v16
	v_or_b32_sdwa v3, v1, v15 dst_sel:DWORD dst_unused:UNUSED_PAD src0_sel:DWORD src1_sel:WORD_1
	v_ashrrev_i32_e32 v1, 31, v0
	v_or_b32_sdwa v2, v2, v14 dst_sel:DWORD dst_unused:UNUSED_PAD src0_sel:DWORD src1_sel:WORD_1
	v_lshl_add_u64 v[0:1], v[0:1], 1, s[14:15]
	global_store_dwordx2 v[0:1], v[2:3], off
	s_and_b64 vcc, exec, s[0:1]
	s_waitcnt vmcnt(1)
	v_and_b32_e32 v0, 0xf000f, v34
	v_lshrrev_b32_e32 v2, 8, v34
	v_and_b32_e32 v3, 0xf000f, v35
	v_and_b32_e32 v14, 0xf000f0, v35
	v_lshrrev_b32_e32 v15, 8, v35
	v_and_b32_e32 v19, 0xf000f, v37
	v_lshrrev_b32_e32 v35, 8, v37
	v_and_b32_e32 v1, 0xf000f0, v34
	v_and_b32_e32 v16, 0xf000f, v36
	;; [unrolled: 1-line block ×3, first 2 shown]
	v_lshrrev_b32_e32 v18, 8, v36
	v_and_b32_e32 v34, 0xf000f0, v37
	v_or_b32_e32 v0, 0x64006400, v0
	v_and_b32_e32 v36, 0xf000f, v2
	v_or_b32_e32 v3, 0x64006400, v3
	v_and_b32_e32 v37, 0xf000f, v15
	v_and_b32_e32 v15, 0xf000f0, v15
	v_or_b32_e32 v19, 0x64006400, v19
	v_and_b32_e32 v39, 0xf000f, v35
	;; [unrolled: 3-line block ×3, first 2 shown]
	v_or_b32_e32 v14, 0x64006400, v14
	v_or_b32_e32 v16, 0x64006400, v16
	;; [unrolled: 1-line block ×3, first 2 shown]
	v_and_b32_e32 v38, 0xf000f, v18
	v_and_b32_e32 v18, 0xf000f0, v18
	v_or_b32_e32 v34, 0x64006400, v34
	v_or_b32_e32 v36, 0x64006400, v36
	v_pk_add_f16 v0, v30, v0
	v_or_b32_e32 v37, 0x64006400, v37
	v_or_b32_e32 v15, 0x64006400, v15
	v_pk_add_f16 v3, v32, v3
	v_or_b32_e32 v39, 0x64006400, v39
	v_or_b32_e32 v35, 0x64006400, v35
	v_pk_add_f16 v19, v33, v19
	v_or_b32_e32 v2, 0x64006400, v2
	v_pk_fma_f16 v1, v1, s55, v11 op_sel_hi:[1,0,1]
	v_pk_fma_f16 v14, v14, s55, v10 op_sel_hi:[1,0,1]
	v_or_b32_e32 v38, 0x64006400, v38
	v_or_b32_e32 v18, 0x64006400, v18
	v_pk_add_f16 v16, v31, v16
	v_pk_fma_f16 v17, v17, s55, v5 op_sel_hi:[1,0,1]
	v_pk_fma_f16 v34, v34, s55, v6 op_sel_hi:[1,0,1]
	v_pk_add_f16 v36, v30, v36
	v_pk_add_f16 v37, v32, v37
	v_pk_fma_f16 v15, v15, s55, v10 op_sel_hi:[1,0,1]
	v_pk_add_f16 v41, v33, v39
	v_pk_fma_f16 v43, v35, s55, v6 op_sel_hi:[1,0,1]
	v_pk_mul_f16 v42, v29, v0
	v_pk_mul_f16 v0, v28, v3
	;; [unrolled: 1-line block ×3, first 2 shown]
	v_pk_fma_f16 v2, v2, s55, v11 op_sel_hi:[1,0,1]
	v_pk_add_f16 v40, v31, v38
	v_pk_fma_f16 v18, v18, s55, v5 op_sel_hi:[1,0,1]
	v_pk_mul_f16 v45, v27, v16
	v_pk_mul_f16 v38, v29, v1
	;; [unrolled: 1-line block ×5, first 2 shown]
	v_lshlrev_b32_e32 v19, 16, v3
	v_lshlrev_b32_e32 v46, 16, v0
	v_pk_mul_f16 v34, v29, v36
	v_pk_mul_f16 v36, v28, v37
	;; [unrolled: 1-line block ×8, first 2 shown]
	v_and_b32_e32 v50, 0xffff0000, v3
	v_and_b32_e32 v51, 0xffff0000, v0
	v_lshlrev_b32_e32 v48, 16, v44
	v_or_b32_sdwa v19, v19, v45 dst_sel:DWORD dst_unused:UNUSED_PAD src0_sel:DWORD src1_sel:WORD_0
	v_or_b32_sdwa v18, v46, v42 dst_sel:DWORD dst_unused:UNUSED_PAD src0_sel:DWORD src1_sel:WORD_0
	v_lshlrev_b32_e32 v49, 16, v1
	v_and_b32_e32 v46, 0xffff0000, v44
	v_and_b32_e32 v47, 0xffff0000, v1
	v_lshlrev_b32_e32 v43, 16, v37
	v_lshlrev_b32_e32 v44, 16, v36
	v_and_b32_e32 v40, 0xffff0000, v37
	v_and_b32_e32 v41, 0xffff0000, v36
	v_lshlrev_b32_e32 v36, 16, v17
	v_lshlrev_b32_e32 v37, 16, v16
	s_cbranch_vccnz .LBB1_23
; %bb.17:                               ;   in Loop: Header=BB1_8 Depth=1
	v_mov_b32_e32 v0, s4
	ds_read_b128 v[52:55], v0 offset:64
	ds_read_b128 v[0:3], v0 offset:80
	s_waitcnt lgkmcnt(1)
	v_mul_lo_u32 v56, v52, s23
	v_mul_lo_u32 v52, v53, s5
	v_add_u32_e32 v56, v56, v4
	v_add_u32_e32 v52, v52, v7
	v_ashrrev_i32_e32 v57, 31, v56
	v_ashrrev_i32_e32 v53, 31, v52
	v_lshl_add_u64 v[56:57], v[56:57], 1, s[14:15]
	global_store_dwordx2 v[56:57], v[18:19], off
	v_lshl_add_u64 v[52:53], v[52:53], 1, s[14:15]
	v_or_b32_sdwa v57, v50, v45 dst_sel:DWORD dst_unused:UNUSED_PAD src0_sel:DWORD src1_sel:WORD_1
	v_or_b32_sdwa v56, v51, v42 dst_sel:DWORD dst_unused:UNUSED_PAD src0_sel:DWORD src1_sel:WORD_1
	global_store_dwordx2 v[52:53], v[56:57], off
	v_mul_lo_u32 v56, v54, s23
	v_mul_lo_u32 v54, v55, s5
	v_add_u32_e32 v56, v56, v4
	v_add_u32_e32 v54, v54, v7
	v_ashrrev_i32_e32 v57, 31, v56
	v_or_b32_sdwa v53, v48, v39 dst_sel:DWORD dst_unused:UNUSED_PAD src0_sel:DWORD src1_sel:WORD_0
	v_or_b32_sdwa v52, v49, v38 dst_sel:DWORD dst_unused:UNUSED_PAD src0_sel:DWORD src1_sel:WORD_0
	v_lshl_add_u64 v[56:57], v[56:57], 1, s[14:15]
	v_ashrrev_i32_e32 v55, 31, v54
	global_store_dwordx2 v[56:57], v[52:53], off
	v_lshl_add_u64 v[52:53], v[54:55], 1, s[14:15]
	v_or_b32_sdwa v55, v46, v39 dst_sel:DWORD dst_unused:UNUSED_PAD src0_sel:DWORD src1_sel:WORD_1
	v_or_b32_sdwa v54, v47, v38 dst_sel:DWORD dst_unused:UNUSED_PAD src0_sel:DWORD src1_sel:WORD_1
	global_store_dwordx2 v[52:53], v[54:55], off
	s_waitcnt lgkmcnt(0)
	v_mul_lo_u32 v54, v0, s23
	v_mul_lo_u32 v0, v1, s5
	v_add_u32_e32 v54, v54, v4
	v_add_u32_e32 v0, v0, v7
	v_ashrrev_i32_e32 v55, 31, v54
	v_or_b32_sdwa v53, v43, v35 dst_sel:DWORD dst_unused:UNUSED_PAD src0_sel:DWORD src1_sel:WORD_0
	v_or_b32_sdwa v52, v44, v34 dst_sel:DWORD dst_unused:UNUSED_PAD src0_sel:DWORD src1_sel:WORD_0
	v_lshl_add_u64 v[54:55], v[54:55], 1, s[14:15]
	v_ashrrev_i32_e32 v1, 31, v0
	global_store_dwordx2 v[54:55], v[52:53], off
	v_lshl_add_u64 v[0:1], v[0:1], 1, s[14:15]
	v_or_b32_sdwa v53, v40, v35 dst_sel:DWORD dst_unused:UNUSED_PAD src0_sel:DWORD src1_sel:WORD_1
	v_or_b32_sdwa v52, v41, v34 dst_sel:DWORD dst_unused:UNUSED_PAD src0_sel:DWORD src1_sel:WORD_1
	global_store_dwordx2 v[0:1], v[52:53], off
	v_mul_lo_u32 v0, v2, s5
	v_add_u32_e32 v0, v0, v4
	v_ashrrev_i32_e32 v1, 31, v0
	v_lshl_add_u64 v[0:1], v[0:1], 1, s[14:15]
	v_or_b32_sdwa v53, v36, v15 dst_sel:DWORD dst_unused:UNUSED_PAD src0_sel:DWORD src1_sel:WORD_0
	v_or_b32_sdwa v52, v37, v14 dst_sel:DWORD dst_unused:UNUSED_PAD src0_sel:DWORD src1_sel:WORD_0
	global_store_dwordx2 v[0:1], v[52:53], off
	s_cbranch_execnz .LBB1_19
.LBB1_18:                               ;   in Loop: Header=BB1_8 Depth=1
	v_add_u32_e32 v0, s40, v20
	v_ashrrev_i32_e32 v1, 31, v0
	v_lshl_add_u64 v[0:1], v[0:1], 1, s[14:15]
	global_store_dwordx2 v[0:1], v[18:19], off
	v_add_u32_e32 v0, s39, v20
	v_ashrrev_i32_e32 v1, 31, v0
	v_lshl_add_u64 v[0:1], v[0:1], 1, s[14:15]
	v_or_b32_sdwa v3, v50, v45 dst_sel:DWORD dst_unused:UNUSED_PAD src0_sel:DWORD src1_sel:WORD_1
	v_or_b32_sdwa v2, v51, v42 dst_sel:DWORD dst_unused:UNUSED_PAD src0_sel:DWORD src1_sel:WORD_1
	global_store_dwordx2 v[0:1], v[2:3], off
	v_add_u32_e32 v0, s37, v20
	v_ashrrev_i32_e32 v1, 31, v0
	v_lshl_add_u64 v[0:1], v[0:1], 1, s[14:15]
	v_or_b32_sdwa v3, v48, v39 dst_sel:DWORD dst_unused:UNUSED_PAD src0_sel:DWORD src1_sel:WORD_0
	v_or_b32_sdwa v2, v49, v38 dst_sel:DWORD dst_unused:UNUSED_PAD src0_sel:DWORD src1_sel:WORD_0
	global_store_dwordx2 v[0:1], v[2:3], off
	v_add_u32_e32 v0, s38, v20
	v_ashrrev_i32_e32 v1, 31, v0
	v_lshl_add_u64 v[0:1], v[0:1], 1, s[14:15]
	v_or_b32_sdwa v3, v46, v39 dst_sel:DWORD dst_unused:UNUSED_PAD src0_sel:DWORD src1_sel:WORD_1
	v_or_b32_sdwa v2, v47, v38 dst_sel:DWORD dst_unused:UNUSED_PAD src0_sel:DWORD src1_sel:WORD_1
	global_store_dwordx2 v[0:1], v[2:3], off
	v_add_u32_e32 v0, s35, v20
	v_ashrrev_i32_e32 v1, 31, v0
	v_lshl_add_u64 v[0:1], v[0:1], 1, s[14:15]
	v_or_b32_sdwa v3, v43, v35 dst_sel:DWORD dst_unused:UNUSED_PAD src0_sel:DWORD src1_sel:WORD_0
	v_or_b32_sdwa v2, v44, v34 dst_sel:DWORD dst_unused:UNUSED_PAD src0_sel:DWORD src1_sel:WORD_0
	;; [unrolled: 12-line block ×3, first 2 shown]
	s_add_i32 s16, s18, 23
	global_store_dwordx2 v[0:1], v[2:3], off
	v_mov_b32_e32 v3, s16
.LBB1_19:                               ;   in Loop: Header=BB1_8 Depth=1
	v_lshl_add_u64 v[0:1], v[12:13], 0, s[2:3]
	global_load_dwordx4 v[34:37], v[0:1], off
	v_mul_lo_u32 v0, v3, s5
	v_and_b32_e32 v1, 0xffff0000, v17
	v_add_u32_e32 v0, v0, v4
	v_and_b32_e32 v2, 0xffff0000, v16
	v_or_b32_sdwa v3, v1, v15 dst_sel:DWORD dst_unused:UNUSED_PAD src0_sel:DWORD src1_sel:WORD_1
	v_ashrrev_i32_e32 v1, 31, v0
	v_or_b32_sdwa v2, v2, v14 dst_sel:DWORD dst_unused:UNUSED_PAD src0_sel:DWORD src1_sel:WORD_1
	v_lshl_add_u64 v[0:1], v[0:1], 1, s[14:15]
	global_store_dwordx2 v[0:1], v[2:3], off
	s_and_b64 vcc, exec, s[0:1]
	s_waitcnt vmcnt(1)
	v_and_b32_e32 v0, 0xf000f, v34
	v_lshrrev_b32_e32 v2, 8, v34
	v_and_b32_e32 v3, 0xf000f, v35
	v_lshrrev_b32_e32 v13, 8, v35
	;; [unrolled: 2-line block ×3, first 2 shown]
	v_and_b32_e32 v1, 0xf000f0, v34
	v_and_b32_e32 v12, 0xf000f0, v35
	v_and_b32_e32 v14, 0xf000f, v36
	v_and_b32_e32 v15, 0xf000f0, v36
	v_lshrrev_b32_e32 v16, 8, v36
	v_and_b32_e32 v18, 0xf000f0, v37
	v_or_b32_e32 v0, 0x64006400, v0
	v_and_b32_e32 v34, 0xf000f, v2
	v_or_b32_e32 v3, 0x64006400, v3
	v_and_b32_e32 v35, 0xf000f, v13
	v_and_b32_e32 v13, 0xf000f0, v13
	v_or_b32_e32 v17, 0x64006400, v17
	v_and_b32_e32 v37, 0xf000f, v19
	;; [unrolled: 3-line block ×3, first 2 shown]
	v_or_b32_e32 v12, 0x64006400, v12
	v_or_b32_e32 v14, 0x64006400, v14
	;; [unrolled: 1-line block ×3, first 2 shown]
	v_and_b32_e32 v36, 0xf000f, v16
	v_and_b32_e32 v16, 0xf000f0, v16
	v_or_b32_e32 v18, 0x64006400, v18
	v_or_b32_e32 v34, 0x64006400, v34
	v_pk_add_f16 v0, v30, v0
	v_or_b32_e32 v35, 0x64006400, v35
	v_or_b32_e32 v13, 0x64006400, v13
	v_pk_add_f16 v3, v32, v3
	;; [unrolled: 3-line block ×3, first 2 shown]
	v_or_b32_e32 v2, 0x64006400, v2
	v_pk_fma_f16 v1, v1, s55, v11 op_sel_hi:[1,0,1]
	v_pk_fma_f16 v12, v12, s55, v10 op_sel_hi:[1,0,1]
	v_or_b32_e32 v36, 0x64006400, v36
	v_or_b32_e32 v16, 0x64006400, v16
	v_pk_add_f16 v14, v31, v14
	v_pk_fma_f16 v15, v15, s55, v5 op_sel_hi:[1,0,1]
	v_pk_fma_f16 v18, v18, s55, v6 op_sel_hi:[1,0,1]
	v_pk_add_f16 v34, v30, v34
	v_pk_add_f16 v35, v32, v35
	v_pk_fma_f16 v13, v13, s55, v10 op_sel_hi:[1,0,1]
	v_pk_add_f16 v39, v33, v37
	v_pk_fma_f16 v41, v19, s55, v6 op_sel_hi:[1,0,1]
	v_pk_mul_f16 v40, v29, v0
	v_pk_mul_f16 v0, v28, v3
	v_pk_mul_f16 v3, v26, v17
	v_pk_fma_f16 v2, v2, s55, v11 op_sel_hi:[1,0,1]
	v_pk_add_f16 v38, v31, v36
	v_pk_fma_f16 v16, v16, s55, v5 op_sel_hi:[1,0,1]
	v_pk_mul_f16 v43, v27, v14
	v_pk_mul_f16 v36, v29, v1
	;; [unrolled: 1-line block ×5, first 2 shown]
	v_lshlrev_b32_e32 v17, 16, v3
	v_lshlrev_b32_e32 v44, 16, v0
	v_pk_mul_f16 v18, v29, v34
	v_pk_mul_f16 v34, v28, v35
	;; [unrolled: 1-line block ×8, first 2 shown]
	v_and_b32_e32 v48, 0xffff0000, v3
	v_and_b32_e32 v49, 0xffff0000, v0
	v_lshlrev_b32_e32 v46, 16, v42
	v_or_b32_sdwa v17, v17, v43 dst_sel:DWORD dst_unused:UNUSED_PAD src0_sel:DWORD src1_sel:WORD_0
	v_or_b32_sdwa v16, v44, v40 dst_sel:DWORD dst_unused:UNUSED_PAD src0_sel:DWORD src1_sel:WORD_0
	v_lshlrev_b32_e32 v47, 16, v1
	v_and_b32_e32 v44, 0xffff0000, v42
	v_and_b32_e32 v45, 0xffff0000, v1
	v_lshlrev_b32_e32 v41, 16, v35
	v_lshlrev_b32_e32 v42, 16, v34
	v_and_b32_e32 v38, 0xffff0000, v35
	v_and_b32_e32 v39, 0xffff0000, v34
	v_lshlrev_b32_e32 v34, 16, v15
	v_lshlrev_b32_e32 v35, 16, v14
	s_cbranch_vccnz .LBB1_24
; %bb.20:                               ;   in Loop: Header=BB1_8 Depth=1
	v_mov_b32_e32 v0, s4
	ds_read_b128 v[50:53], v0 offset:96
	ds_read_b128 v[0:3], v0 offset:112
	s_waitcnt lgkmcnt(1)
	v_mul_lo_u32 v54, v50, s23
	v_mul_lo_u32 v50, v51, s5
	v_add_u32_e32 v54, v54, v4
	v_add_u32_e32 v50, v50, v7
	v_ashrrev_i32_e32 v55, 31, v54
	v_ashrrev_i32_e32 v51, 31, v50
	v_lshl_add_u64 v[54:55], v[54:55], 1, s[14:15]
	global_store_dwordx2 v[54:55], v[16:17], off
	v_lshl_add_u64 v[50:51], v[50:51], 1, s[14:15]
	v_or_b32_sdwa v55, v48, v43 dst_sel:DWORD dst_unused:UNUSED_PAD src0_sel:DWORD src1_sel:WORD_1
	v_or_b32_sdwa v54, v49, v40 dst_sel:DWORD dst_unused:UNUSED_PAD src0_sel:DWORD src1_sel:WORD_1
	global_store_dwordx2 v[50:51], v[54:55], off
	v_mul_lo_u32 v54, v52, s23
	v_mul_lo_u32 v52, v53, s5
	v_add_u32_e32 v54, v54, v4
	v_add_u32_e32 v52, v52, v7
	v_ashrrev_i32_e32 v55, 31, v54
	v_or_b32_sdwa v51, v46, v37 dst_sel:DWORD dst_unused:UNUSED_PAD src0_sel:DWORD src1_sel:WORD_0
	v_or_b32_sdwa v50, v47, v36 dst_sel:DWORD dst_unused:UNUSED_PAD src0_sel:DWORD src1_sel:WORD_0
	v_lshl_add_u64 v[54:55], v[54:55], 1, s[14:15]
	v_ashrrev_i32_e32 v53, 31, v52
	global_store_dwordx2 v[54:55], v[50:51], off
	v_lshl_add_u64 v[50:51], v[52:53], 1, s[14:15]
	v_or_b32_sdwa v53, v44, v37 dst_sel:DWORD dst_unused:UNUSED_PAD src0_sel:DWORD src1_sel:WORD_1
	v_or_b32_sdwa v52, v45, v36 dst_sel:DWORD dst_unused:UNUSED_PAD src0_sel:DWORD src1_sel:WORD_1
	global_store_dwordx2 v[50:51], v[52:53], off
	s_waitcnt lgkmcnt(0)
	v_mul_lo_u32 v52, v0, s23
	v_mul_lo_u32 v0, v1, s5
	v_add_u32_e32 v52, v52, v4
	v_add_u32_e32 v0, v0, v7
	v_ashrrev_i32_e32 v53, 31, v52
	v_or_b32_sdwa v51, v41, v19 dst_sel:DWORD dst_unused:UNUSED_PAD src0_sel:DWORD src1_sel:WORD_0
	v_or_b32_sdwa v50, v42, v18 dst_sel:DWORD dst_unused:UNUSED_PAD src0_sel:DWORD src1_sel:WORD_0
	v_lshl_add_u64 v[52:53], v[52:53], 1, s[14:15]
	v_ashrrev_i32_e32 v1, 31, v0
	global_store_dwordx2 v[52:53], v[50:51], off
	v_lshl_add_u64 v[0:1], v[0:1], 1, s[14:15]
	v_or_b32_sdwa v51, v38, v19 dst_sel:DWORD dst_unused:UNUSED_PAD src0_sel:DWORD src1_sel:WORD_1
	v_or_b32_sdwa v50, v39, v18 dst_sel:DWORD dst_unused:UNUSED_PAD src0_sel:DWORD src1_sel:WORD_1
	global_store_dwordx2 v[0:1], v[50:51], off
	v_mul_lo_u32 v0, v2, s5
	v_add_u32_e32 v0, v0, v4
	v_ashrrev_i32_e32 v1, 31, v0
	v_lshl_add_u64 v[0:1], v[0:1], 1, s[14:15]
	v_or_b32_sdwa v51, v34, v13 dst_sel:DWORD dst_unused:UNUSED_PAD src0_sel:DWORD src1_sel:WORD_0
	v_or_b32_sdwa v50, v35, v12 dst_sel:DWORD dst_unused:UNUSED_PAD src0_sel:DWORD src1_sel:WORD_0
	global_store_dwordx2 v[0:1], v[50:51], off
	s_cbranch_execnz .LBB1_7
	s_branch .LBB1_25
.LBB1_21:                               ;   in Loop: Header=BB1_8 Depth=1
                                        ; implicit-def: $vgpr3
	s_branch .LBB1_12
.LBB1_22:                               ;   in Loop: Header=BB1_8 Depth=1
                                        ; implicit-def: $vgpr3
	s_branch .LBB1_15
.LBB1_23:                               ;   in Loop: Header=BB1_8 Depth=1
                                        ; implicit-def: $vgpr3
	s_branch .LBB1_18
.LBB1_24:                               ;   in Loop: Header=BB1_8 Depth=1
                                        ; implicit-def: $vgpr3
.LBB1_25:                               ;   in Loop: Header=BB1_8 Depth=1
	v_add_u32_e32 v0, s33, v20
	v_ashrrev_i32_e32 v1, 31, v0
	v_lshl_add_u64 v[0:1], v[0:1], 1, s[14:15]
	global_store_dwordx2 v[0:1], v[16:17], off
	v_add_u32_e32 v0, s31, v20
	v_ashrrev_i32_e32 v1, 31, v0
	v_lshl_add_u64 v[0:1], v[0:1], 1, s[14:15]
	v_or_b32_sdwa v3, v48, v43 dst_sel:DWORD dst_unused:UNUSED_PAD src0_sel:DWORD src1_sel:WORD_1
	v_or_b32_sdwa v2, v49, v40 dst_sel:DWORD dst_unused:UNUSED_PAD src0_sel:DWORD src1_sel:WORD_1
	global_store_dwordx2 v[0:1], v[2:3], off
	v_add_u32_e32 v0, s29, v20
	v_ashrrev_i32_e32 v1, 31, v0
	v_lshl_add_u64 v[0:1], v[0:1], 1, s[14:15]
	v_or_b32_sdwa v3, v46, v37 dst_sel:DWORD dst_unused:UNUSED_PAD src0_sel:DWORD src1_sel:WORD_0
	v_or_b32_sdwa v2, v47, v36 dst_sel:DWORD dst_unused:UNUSED_PAD src0_sel:DWORD src1_sel:WORD_0
	global_store_dwordx2 v[0:1], v[2:3], off
	v_add_u32_e32 v0, s30, v20
	v_ashrrev_i32_e32 v1, 31, v0
	v_lshl_add_u64 v[0:1], v[0:1], 1, s[14:15]
	v_or_b32_sdwa v3, v44, v37 dst_sel:DWORD dst_unused:UNUSED_PAD src0_sel:DWORD src1_sel:WORD_1
	v_or_b32_sdwa v2, v45, v36 dst_sel:DWORD dst_unused:UNUSED_PAD src0_sel:DWORD src1_sel:WORD_1
	global_store_dwordx2 v[0:1], v[2:3], off
	v_add_u32_e32 v0, s27, v20
	v_ashrrev_i32_e32 v1, 31, v0
	v_lshl_add_u64 v[0:1], v[0:1], 1, s[14:15]
	v_or_b32_sdwa v3, v41, v19 dst_sel:DWORD dst_unused:UNUSED_PAD src0_sel:DWORD src1_sel:WORD_0
	v_or_b32_sdwa v2, v42, v18 dst_sel:DWORD dst_unused:UNUSED_PAD src0_sel:DWORD src1_sel:WORD_0
	;; [unrolled: 12-line block ×3, first 2 shown]
	s_add_i32 s0, s18, 31
	global_store_dwordx2 v[0:1], v[2:3], off
	v_mov_b32_e32 v3, s0
	s_branch .LBB1_7
.LBB1_26:
	s_endpgm
	.section	.rodata,"a",@progbits
	.p2align	6, 0x0
	.amdhsa_kernel _ZN4vllm4gptq31reconstruct_exllama_4bit_kernelEPKjPKiS2_PK6__halfiiibPS5_
		.amdhsa_group_segment_fixed_size 512
		.amdhsa_private_segment_fixed_size 0
		.amdhsa_kernarg_size 56
		.amdhsa_user_sgpr_count 2
		.amdhsa_user_sgpr_dispatch_ptr 0
		.amdhsa_user_sgpr_queue_ptr 0
		.amdhsa_user_sgpr_kernarg_segment_ptr 1
		.amdhsa_user_sgpr_dispatch_id 0
		.amdhsa_user_sgpr_kernarg_preload_length 0
		.amdhsa_user_sgpr_kernarg_preload_offset 0
		.amdhsa_user_sgpr_private_segment_size 0
		.amdhsa_uses_dynamic_stack 0
		.amdhsa_enable_private_segment 0
		.amdhsa_system_sgpr_workgroup_id_x 1
		.amdhsa_system_sgpr_workgroup_id_y 1
		.amdhsa_system_sgpr_workgroup_id_z 0
		.amdhsa_system_sgpr_workgroup_info 0
		.amdhsa_system_vgpr_workitem_id 0
		.amdhsa_next_free_vgpr 58
		.amdhsa_next_free_sgpr 56
		.amdhsa_accum_offset 60
		.amdhsa_reserve_vcc 1
		.amdhsa_float_round_mode_32 0
		.amdhsa_float_round_mode_16_64 0
		.amdhsa_float_denorm_mode_32 3
		.amdhsa_float_denorm_mode_16_64 3
		.amdhsa_dx10_clamp 1
		.amdhsa_ieee_mode 1
		.amdhsa_fp16_overflow 0
		.amdhsa_tg_split 0
		.amdhsa_exception_fp_ieee_invalid_op 0
		.amdhsa_exception_fp_denorm_src 0
		.amdhsa_exception_fp_ieee_div_zero 0
		.amdhsa_exception_fp_ieee_overflow 0
		.amdhsa_exception_fp_ieee_underflow 0
		.amdhsa_exception_fp_ieee_inexact 0
		.amdhsa_exception_int_div_zero 0
	.end_amdhsa_kernel
	.text
.Lfunc_end1:
	.size	_ZN4vllm4gptq31reconstruct_exllama_4bit_kernelEPKjPKiS2_PK6__halfiiibPS5_, .Lfunc_end1-_ZN4vllm4gptq31reconstruct_exllama_4bit_kernelEPKjPKiS2_PK6__halfiiibPS5_
                                        ; -- End function
	.set _ZN4vllm4gptq31reconstruct_exllama_4bit_kernelEPKjPKiS2_PK6__halfiiibPS5_.num_vgpr, 58
	.set _ZN4vllm4gptq31reconstruct_exllama_4bit_kernelEPKjPKiS2_PK6__halfiiibPS5_.num_agpr, 0
	.set _ZN4vllm4gptq31reconstruct_exllama_4bit_kernelEPKjPKiS2_PK6__halfiiibPS5_.numbered_sgpr, 56
	.set _ZN4vllm4gptq31reconstruct_exllama_4bit_kernelEPKjPKiS2_PK6__halfiiibPS5_.num_named_barrier, 0
	.set _ZN4vllm4gptq31reconstruct_exllama_4bit_kernelEPKjPKiS2_PK6__halfiiibPS5_.private_seg_size, 0
	.set _ZN4vllm4gptq31reconstruct_exllama_4bit_kernelEPKjPKiS2_PK6__halfiiibPS5_.uses_vcc, 1
	.set _ZN4vllm4gptq31reconstruct_exllama_4bit_kernelEPKjPKiS2_PK6__halfiiibPS5_.uses_flat_scratch, 0
	.set _ZN4vllm4gptq31reconstruct_exllama_4bit_kernelEPKjPKiS2_PK6__halfiiibPS5_.has_dyn_sized_stack, 0
	.set _ZN4vllm4gptq31reconstruct_exllama_4bit_kernelEPKjPKiS2_PK6__halfiiibPS5_.has_recursion, 0
	.set _ZN4vllm4gptq31reconstruct_exllama_4bit_kernelEPKjPKiS2_PK6__halfiiibPS5_.has_indirect_call, 0
	.section	.AMDGPU.csdata,"",@progbits
; Kernel info:
; codeLenInByte = 6956
; TotalNumSgprs: 62
; NumVgprs: 58
; NumAgprs: 0
; TotalNumVgprs: 58
; ScratchSize: 0
; MemoryBound: 0
; FloatMode: 240
; IeeeMode: 1
; LDSByteSize: 512 bytes/workgroup (compile time only)
; SGPRBlocks: 7
; VGPRBlocks: 7
; NumSGPRsForWavesPerEU: 62
; NumVGPRsForWavesPerEU: 58
; AccumOffset: 60
; Occupancy: 8
; WaveLimiterHint : 0
; COMPUTE_PGM_RSRC2:SCRATCH_EN: 0
; COMPUTE_PGM_RSRC2:USER_SGPR: 2
; COMPUTE_PGM_RSRC2:TRAP_HANDLER: 0
; COMPUTE_PGM_RSRC2:TGID_X_EN: 1
; COMPUTE_PGM_RSRC2:TGID_Y_EN: 1
; COMPUTE_PGM_RSRC2:TGID_Z_EN: 0
; COMPUTE_PGM_RSRC2:TIDIG_COMP_CNT: 0
; COMPUTE_PGM_RSRC3_GFX90A:ACCUM_OFFSET: 14
; COMPUTE_PGM_RSRC3_GFX90A:TG_SPLIT: 0
	.text
	.protected	_ZN4vllm4gptq31reconstruct_exllama_3bit_kernelEPKjPKiS2_PK6__halfiiibPS5_ ; -- Begin function _ZN4vllm4gptq31reconstruct_exllama_3bit_kernelEPKjPKiS2_PK6__halfiiibPS5_
	.globl	_ZN4vllm4gptq31reconstruct_exllama_3bit_kernelEPKjPKiS2_PK6__halfiiibPS5_
	.p2align	8
	.type	_ZN4vllm4gptq31reconstruct_exllama_3bit_kernelEPKjPKiS2_PK6__halfiiibPS5_,@function
_ZN4vllm4gptq31reconstruct_exllama_3bit_kernelEPKjPKiS2_PK6__halfiiibPS5_: ; @_ZN4vllm4gptq31reconstruct_exllama_3bit_kernelEPKjPKiS2_PK6__halfiiibPS5_
; %bb.0:
	s_load_dwordx2 s[4:5], s[0:1], 0x8
	s_load_dwordx4 s[12:15], s[0:1], 0x20
	s_lshl_b32 s30, s3, 7
	s_waitcnt lgkmcnt(0)
	s_cmp_lg_u64 s[4:5], 0
	s_cselect_b64 s[10:11], -1, 0
	s_cmp_eq_u64 s[4:5], 0
	s_cbranch_scc1 .LBB2_4
; %bb.1:
	v_add_u32_e32 v2, s30, v0
	v_cmp_gt_u32_e32 vcc, s12, v2
	s_and_saveexec_b64 s[6:7], vcc
	s_cbranch_execz .LBB2_3
; %bb.2:
	v_mov_b32_e32 v3, 0
	v_lshl_add_u64 v[2:3], v[2:3], 2, s[4:5]
	global_load_dword v1, v[2:3], off
	v_lshlrev_b32_e32 v2, 2, v0
	s_waitcnt vmcnt(0)
	ds_write_b32 v2, v1
.LBB2_3:
	s_or_b64 exec, exec, s[6:7]
.LBB2_4:
	s_lshl_b32 s2, s2, 9
	v_lshlrev_b32_e32 v18, 2, v0
	v_add_u32_e32 v12, s2, v18
	v_cmp_gt_i32_e32 vcc, s13, v12
	s_and_saveexec_b64 s[4:5], vcc
	s_cbranch_execz .LBB2_46
; %bb.5:
	s_abs_i32 s4, s14
	v_cvt_f32_u32_e32 v0, s4
	s_sub_i32 s7, 0, s4
	s_abs_i32 s6, s12
	s_xor_b32 s5, s12, s14
	v_rcp_iflag_f32_e32 v0, v0
	s_ashr_i32 s5, s5, 31
	s_load_dwordx2 s[16:17], s[0:1], 0x10
	v_and_b32_e32 v2, 28, v18
	v_mul_f32_e32 v0, 0x4f7ffffe, v0
	v_cvt_u32_f32_e32 v0, v0
                                        ; implicit-def: $vgpr3
	s_nop 0
	v_readfirstlane_b32 s8, v0
	s_mul_i32 s7, s7, s8
	s_mul_hi_u32 s7, s8, s7
	s_add_i32 s8, s8, s7
	s_mul_hi_u32 s7, s6, s8
	s_mul_i32 s8, s7, s4
	s_sub_i32 s6, s6, s8
	s_add_i32 s9, s7, 1
	s_sub_i32 s8, s6, s4
	s_cmp_ge_u32 s6, s4
	s_cselect_b32 s7, s9, s7
	s_cselect_b32 s6, s8, s6
	s_add_i32 s8, s7, 1
	s_cmp_ge_u32 s6, s4
	s_cselect_b32 s4, s8, s7
	s_xor_b32 s4, s4, s5
	s_sub_i32 s31, s4, s5
	v_cvt_f32_u32_e32 v0, s31
	s_sub_i32 s4, 0, s31
	v_cmp_lt_u32_e64 s[8:9], 4, v2
	v_rcp_iflag_f32_e32 v0, v0
	s_nop 0
	v_mul_f32_e32 v0, 0x4f7ffffe, v0
	v_cvt_u32_f32_e32 v0, v0
	s_nop 0
	v_readfirstlane_b32 s5, v0
	s_mul_i32 s4, s4, s5
	s_mul_hi_u32 s4, s5, s4
	s_add_i32 s5, s5, s4
	s_mul_hi_u32 s4, s30, s5
	s_mul_i32 s5, s4, s31
	s_sub_i32 s5, s30, s5
	s_add_i32 s6, s4, 1
	s_sub_i32 s7, s5, s31
	s_cmp_ge_u32 s5, s31
	s_cselect_b32 s4, s6, s4
	s_cselect_b32 s5, s7, s5
	s_add_i32 s6, s4, 1
	s_cmp_ge_u32 s5, s31
	s_cselect_b32 s33, s6, s4
                                        ; implicit-def: $vgpr0
	s_and_saveexec_b64 s[4:5], s[8:9]
	s_xor_b64 s[4:5], exec, s[4:5]
	s_cbranch_execz .LBB2_19
; %bb.6:
	v_cmp_ne_u32_e32 vcc, 8, v2
                                        ; implicit-def: $vgpr3
                                        ; implicit-def: $vgpr0
	s_and_saveexec_b64 s[6:7], vcc
	s_xor_b64 s[6:7], exec, s[6:7]
	s_cbranch_execz .LBB2_16
; %bb.7:
	v_cmp_lt_u32_e32 vcc, 16, v2
                                        ; implicit-def: $vgpr3
                                        ; implicit-def: $vgpr0
	s_and_saveexec_b64 s[18:19], vcc
	s_xor_b64 s[18:19], exec, s[18:19]
	s_cbranch_execz .LBB2_13
; %bb.8:
	s_mul_i32 s14, s33, s13
	v_lshl_add_u32 v0, v12, 1, v12
	s_ashr_i32 s20, s14, 31
	v_ashrrev_i32_e32 v1, 31, v0
	s_lshr_b32 s20, s20, 27
	v_lshrrev_b32_e32 v1, 27, v1
	s_add_i32 s20, s14, s20
	v_add_u32_e32 v0, v0, v1
	s_ashr_i32 s20, s20, 5
	v_ashrrev_i32_e32 v0, 5, v0
	v_mad_u64_u32 v[0:1], s[20:21], s20, 3, v[0:1]
	v_ashrrev_i32_e32 v1, 31, v0
	s_waitcnt lgkmcnt(0)
	v_lshl_add_u64 v[0:1], v[0:1], 2, s[16:17]
	global_load_dword v4, v[0:1], off
	v_cmp_ne_u32_e32 vcc, 20, v2
                                        ; implicit-def: $vgpr3
	s_and_saveexec_b64 s[20:21], vcc
	s_xor_b64 s[20:21], exec, s[20:21]
	s_cbranch_execz .LBB2_10
; %bb.9:
	v_not_b32_e32 v0, 63
	v_mad_u32_u24 v0, v2, 3, v0
	s_waitcnt vmcnt(0)
	v_lshrrev_b32_e32 v3, v0, v4
                                        ; implicit-def: $vgpr0_vgpr1
                                        ; implicit-def: $vgpr4
.LBB2_10:
	s_andn2_saveexec_b64 s[20:21], s[20:21]
	s_cbranch_execz .LBB2_12
; %bb.11:
	global_load_dword v0, v[0:1], off offset:4
	s_waitcnt vmcnt(0)
	v_alignbit_b32 v0, v0, v4, 28
	v_and_b32_e32 v3, 0xfff, v0
.LBB2_12:
	s_or_b64 exec, exec, s[20:21]
	v_mov_b32_e32 v0, s14
.LBB2_13:
	s_andn2_saveexec_b64 s[18:19], s[18:19]
	s_cbranch_execz .LBB2_15
; %bb.14:
	s_mul_i32 s14, s33, s13
	v_lshl_add_u32 v0, v12, 1, v12
	s_ashr_i32 s20, s14, 31
	v_ashrrev_i32_e32 v1, 31, v0
	s_lshr_b32 s20, s20, 27
	v_lshrrev_b32_e32 v1, 27, v1
	s_add_i32 s20, s14, s20
	v_add_u32_e32 v0, v0, v1
	s_ashr_i32 s20, s20, 5
	v_ashrrev_i32_e32 v0, 5, v0
	v_mad_u64_u32 v[0:1], s[20:21], s20, 3, v[0:1]
	v_ashrrev_i32_e32 v1, 31, v0
	s_waitcnt lgkmcnt(0)
	v_lshl_add_u64 v[0:1], v[0:1], 2, s[16:17]
	global_load_dword v0, v[0:1], off
	v_not_b32_e32 v1, 31
	v_mad_u32_u24 v1, v2, 3, v1
	s_waitcnt vmcnt(0)
	v_lshrrev_b32_e32 v3, v1, v0
	v_mov_b32_e32 v0, s14
.LBB2_15:
	s_or_b64 exec, exec, s[18:19]
.LBB2_16:
	s_andn2_saveexec_b64 s[6:7], s[6:7]
	s_cbranch_execz .LBB2_18
; %bb.17:
	s_mul_i32 s14, s33, s13
	v_lshl_add_u32 v0, v12, 1, v12
	s_ashr_i32 s18, s14, 31
	v_ashrrev_i32_e32 v1, 31, v0
	s_lshr_b32 s18, s18, 27
	v_lshrrev_b32_e32 v1, 27, v1
	s_add_i32 s18, s14, s18
	v_add_u32_e32 v0, v0, v1
	s_ashr_i32 s18, s18, 5
	v_ashrrev_i32_e32 v0, 5, v0
	v_mad_u64_u32 v[0:1], s[18:19], s18, 3, v[0:1]
	v_ashrrev_i32_e32 v1, 31, v0
	s_waitcnt lgkmcnt(0)
	v_lshl_add_u64 v[0:1], v[0:1], 2, s[16:17]
	global_load_dwordx2 v[0:1], v[0:1], off
	s_mov_b32 s18, 0x2010007
	s_waitcnt vmcnt(0)
	v_perm_b32 v0, v0, v1, s18
	v_and_b32_e32 v3, 0xfff, v0
	v_mov_b32_e32 v0, s14
.LBB2_18:
	s_or_b64 exec, exec, s[6:7]
.LBB2_19:
	s_or_saveexec_b64 s[4:5], s[4:5]
	s_waitcnt vmcnt(0)
	v_lshl_add_u32 v4, v12, 1, v12
	v_ashrrev_i32_e32 v5, 31, v4
	v_mul_u32_u24_e32 v19, 3, v2
	s_xor_b64 exec, exec, s[4:5]
	s_cbranch_execz .LBB2_21
; %bb.20:
	s_mul_i32 s14, s33, s13
	s_ashr_i32 s6, s14, 31
	s_lshr_b32 s6, s6, 27
	v_lshrrev_b32_e32 v0, 27, v5
	s_add_i32 s6, s14, s6
	v_add_u32_e32 v0, v4, v0
	s_ashr_i32 s6, s6, 5
	v_ashrrev_i32_e32 v0, 5, v0
	v_mad_u64_u32 v[0:1], s[6:7], s6, 3, v[0:1]
	v_ashrrev_i32_e32 v1, 31, v0
	s_waitcnt lgkmcnt(0)
	v_lshl_add_u64 v[0:1], v[0:1], 2, s[16:17]
	global_load_dword v0, v[0:1], off
	s_waitcnt vmcnt(0)
	v_lshrrev_b32_e32 v3, v19, v0
	v_mov_b32_e32 v0, s14
.LBB2_21:
	s_or_b64 exec, exec, s[4:5]
	s_add_i32 s4, s30, 0x80
	v_cvt_f64_u32_e32 v[6:7], s4
	v_cvt_f64_i32_e32 v[8:9], s12
	v_min_f64 v[6:7], v[6:7], v[8:9]
	v_cvt_i32_f64_e32 v20, v[6:7]
	v_cmp_ge_i32_e32 vcc, s30, v20
	s_waitcnt lgkmcnt(0)
	s_barrier
	s_cbranch_vccnz .LBB2_46
; %bb.22:
	s_load_dwordx2 s[18:19], s[0:1], 0x18
	s_load_dwordx2 s[20:21], s[0:1], 0x30
	v_add_u32_e32 v0, v0, v12
	v_ashrrev_i32_e32 v1, 31, v0
	s_load_dwordx2 s[24:25], s[0:1], 0x0
	s_waitcnt lgkmcnt(0)
	v_lshl_add_u64 v[0:1], v[0:1], 1, s[18:19]
	global_load_dwordx2 v[0:1], v[0:1], off
	s_lshr_b32 s26, s30, 5
	s_mul_i32 s26, s26, s13
	s_mul_i32 s26, s26, 3
	s_ashr_i32 s27, s26, 31
	s_add_i32 s12, s31, s30
	s_lshl_b64 s[26:27], s[26:27], 2
	s_add_u32 s24, s24, s26
	s_addc_u32 s25, s25, s27
	v_ashrrev_i32_e32 v13, 31, v12
	s_bitcmp1_b32 s15, 0
	v_lshl_add_u64 v[16:17], v[12:13], 2, s[24:25]
	s_cselect_b64 s[24:25], -1, 0
	s_add_i32 s26, s30, 30
	s_xor_b64 s[24:25], s[24:25], -1
	s_add_i32 s28, s30, 29
	s_add_i32 s37, s30, 27
	;; [unrolled: 1-line block ×3, first 2 shown]
	v_cndmask_b32_e64 v13, 0, 1, s[24:25]
	s_mul_i32 s24, s13, s26
	s_mul_i32 s26, s13, s28
	;; [unrolled: 1-line block ×3, first 2 shown]
	s_add_i32 s37, s24, s2
	s_mul_i32 s24, s13, s50
	s_add_i32 s40, s30, 22
	s_add_i32 s43, s30, 21
	;; [unrolled: 1-line block ×5, first 2 shown]
	s_mul_i32 s47, s13, s40
	s_mul_i32 s51, s13, s43
	;; [unrolled: 1-line block ×3, first 2 shown]
	s_add_i32 s41, s30, 23
	s_mul_i32 s52, s13, s44
	s_add_i32 s44, s47, s2
	s_add_i32 s47, s51, s2
	;; [unrolled: 1-line block ×5, first 2 shown]
	s_mul_i32 s48, s13, s41
	s_mul_i32 s24, s13, s24
	s_add_i32 s39, s30, 25
	s_add_i32 s42, s30, 20
	s_mul_i32 s53, s13, s45
	s_add_i32 s45, s48, s2
	s_add_i32 s48, s52, s2
	;; [unrolled: 1-line block ×4, first 2 shown]
	s_mul_i32 s46, s13, s39
	s_mul_i32 s49, s13, s42
	;; [unrolled: 1-line block ×3, first 2 shown]
	s_add_i32 s43, s46, s2
	s_add_i32 s46, s49, s2
	;; [unrolled: 1-line block ×5, first 2 shown]
	s_mul_i32 s24, s13, s24
	s_add_i32 s54, s24, s2
	s_add_i32 s24, s30, 13
	s_mul_i32 s24, s13, s24
	s_add_i32 s55, s24, s2
	s_add_i32 s24, s30, 10
	;; [unrolled: 3-line block ×11, first 2 shown]
	s_mul_i32 s24, s13, s24
	v_bfe_u32 v26, v3, 9, 3
	v_bfe_u32 v25, v3, 6, 3
	;; [unrolled: 1-line block ×3, first 2 shown]
	v_and_b32_e32 v23, 7, v3
	v_lshrrev_b32_e32 v3, 27, v5
	s_add_i32 s27, s30, 28
	s_add_i32 s29, s30, 26
	;; [unrolled: 1-line block ×5, first 2 shown]
	s_mul_i32 s3, s3, s13
	s_mov_b32 s34, 0x10001
	v_not_b32_e32 v5, 63
	v_not_b32_e32 v6, 31
	s_mov_b32 s14, s13
	v_add_u32_e32 v3, v4, v3
	s_ashr_i32 s15, s13, 31
	s_mul_i32 s25, s13, s27
	s_mul_i32 s27, s13, s29
	;; [unrolled: 1-line block ×4, first 2 shown]
	s_lshl_b32 s3, s3, 7
	v_cmp_ne_u32_e64 s[0:1], 8, v2
	v_cmp_lt_u32_e64 s[4:5], 16, v2
	v_cmp_ne_u32_e64 s[6:7], 20, v2
	s_mov_b32 s35, s13
	v_mov_b32_e32 v15, v12
	s_mul_hi_i32 s23, s13, 12
	s_mul_i32 s22, s13, 12
	v_mad_u32_u24 v21, v2, 3, v5
	v_mad_u32_u24 v22, v2, 3, v6
	v_ashrrev_i32_e32 v14, 5, v3
	s_lshl_b32 s36, s13, 5
	s_add_i32 s38, s25, s2
	s_add_i32 s39, s26, s2
	;; [unrolled: 1-line block ×5, first 2 shown]
	s_waitcnt vmcnt(0)
	v_mul_u32_u24_sdwa v28, v1, s34 dst_sel:DWORD dst_unused:UNUSED_PAD src0_sel:WORD_1 src1_sel:DWORD
	v_mul_u32_u24_sdwa v29, v1, s34 dst_sel:DWORD dst_unused:UNUSED_PAD src0_sel:WORD_0 src1_sel:DWORD
	v_mul_u32_u24_sdwa v30, v0, s34 dst_sel:DWORD dst_unused:UNUSED_PAD src0_sel:WORD_1 src1_sel:DWORD
	v_mul_u32_u24_sdwa v31, v0, s34 dst_sel:DWORD dst_unused:UNUSED_PAD src0_sel:WORD_0 src1_sel:DWORD
	s_add_i32 s66, s24, s2
	s_add_i32 s67, s3, s2
	s_lshl_b64 s[2:3], s[14:15], 2
	s_mov_b32 s68, 0
	s_mov_b32 s69, 0x2010007
	;; [unrolled: 1-line block ×3, first 2 shown]
	s_movk_i32 s71, 0x3000
	s_movk_i32 s72, 0x2400
	v_mov_b32_e32 v27, 0xe400e400
	s_branch .LBB2_24
.LBB2_23:                               ;   in Loop: Header=BB2_24 Depth=1
	v_mul_lo_u32 v0, v3, s13
	v_add_u32_e32 v0, v0, v12
	s_add_i32 s30, s30, 32
	v_and_b32_e32 v2, 0xffff0000, v7
	v_and_b32_e32 v6, 0xffff0000, v6
	v_ashrrev_i32_e32 v1, 31, v0
	v_cmp_lt_i32_e32 vcc, s30, v20
	v_lshl_add_u64 v[0:1], v[0:1], 1, s[20:21]
	v_or_b32_sdwa v3, v2, v5 dst_sel:DWORD dst_unused:UNUSED_PAD src0_sel:DWORD src1_sel:WORD_1
	v_or_b32_sdwa v2, v6, v4 dst_sel:DWORD dst_unused:UNUSED_PAD src0_sel:DWORD src1_sel:WORD_1
	v_lshl_add_u64 v[16:17], v[16:17], 0, s[22:23]
	s_add_i32 s37, s37, s36
	s_add_i32 s38, s38, s36
	;; [unrolled: 1-line block ×31, first 2 shown]
	s_addk_i32 s68, 0x80
	global_store_dwordx2 v[0:1], v[2:3], off
	s_cbranch_vccz .LBB2_46
.LBB2_24:                               ; =>This Inner Loop Header: Depth=1
	s_cmp_lg_u32 s30, s12
	s_cbranch_scc1 .LBB2_42
; %bb.25:                               ;   in Loop: Header=BB2_24 Depth=1
	s_add_i32 s33, s33, 1
	s_mul_i32 s73, s33, s13
	s_ashr_i32 s14, s73, 31
	s_lshr_b32 s14, s14, 27
	s_add_i32 s14, s73, s14
	s_ashr_i32 s14, s14, 5
	v_mad_u64_u32 v[0:1], s[14:15], s14, 3, v[14:15]
	v_ashrrev_i32_e32 v1, 31, v0
	v_lshl_add_u64 v[0:1], v[0:1], 2, s[16:17]
	global_load_dword v3, v[0:1], off
                                        ; implicit-def: $vgpr2
	s_and_saveexec_b64 s[14:15], s[8:9]
	s_xor_b64 s[14:15], exec, s[14:15]
	s_cbranch_execz .LBB2_39
; %bb.26:                               ;   in Loop: Header=BB2_24 Depth=1
                                        ; implicit-def: $vgpr2
	s_and_saveexec_b64 s[24:25], s[0:1]
	s_xor_b64 s[24:25], exec, s[24:25]
	s_cbranch_execz .LBB2_36
; %bb.27:                               ;   in Loop: Header=BB2_24 Depth=1
	;; [unrolled: 5-line block ×4, first 2 shown]
	s_waitcnt vmcnt(0)
	v_lshrrev_b32_e32 v2, v21, v3
                                        ; implicit-def: $vgpr0_vgpr1
                                        ; implicit-def: $vgpr3
.LBB2_30:                               ;   in Loop: Header=BB2_24 Depth=1
	s_andn2_saveexec_b64 s[28:29], s[28:29]
	s_cbranch_execz .LBB2_32
; %bb.31:                               ;   in Loop: Header=BB2_24 Depth=1
	global_load_dword v0, v[0:1], off offset:4
	s_waitcnt vmcnt(0)
	v_alignbit_b32 v0, v0, v3, 28
	v_and_b32_e32 v2, 0xfff, v0
.LBB2_32:                               ;   in Loop: Header=BB2_24 Depth=1
	s_or_b64 exec, exec, s[28:29]
                                        ; implicit-def: $vgpr3
.LBB2_33:                               ;   in Loop: Header=BB2_24 Depth=1
	s_andn2_saveexec_b64 s[26:27], s[26:27]
	s_cbranch_execz .LBB2_35
; %bb.34:                               ;   in Loop: Header=BB2_24 Depth=1
	s_waitcnt vmcnt(0)
	v_lshrrev_b32_e32 v2, v22, v3
.LBB2_35:                               ;   in Loop: Header=BB2_24 Depth=1
	s_or_b64 exec, exec, s[26:27]
                                        ; implicit-def: $vgpr0_vgpr1
                                        ; implicit-def: $vgpr3
.LBB2_36:                               ;   in Loop: Header=BB2_24 Depth=1
	s_andn2_saveexec_b64 s[24:25], s[24:25]
	s_cbranch_execz .LBB2_38
; %bb.37:                               ;   in Loop: Header=BB2_24 Depth=1
	global_load_dword v0, v[0:1], off offset:4
	s_waitcnt vmcnt(0)
	v_perm_b32 v0, v3, v0, s69
	v_and_b32_e32 v2, 0xfff, v0
.LBB2_38:                               ;   in Loop: Header=BB2_24 Depth=1
	s_or_b64 exec, exec, s[24:25]
                                        ; implicit-def: $vgpr3
.LBB2_39:                               ;   in Loop: Header=BB2_24 Depth=1
	s_andn2_saveexec_b64 s[14:15], s[14:15]
	s_cbranch_execz .LBB2_41
; %bb.40:                               ;   in Loop: Header=BB2_24 Depth=1
	s_waitcnt vmcnt(0)
	v_lshrrev_b32_e32 v2, v19, v3
.LBB2_41:                               ;   in Loop: Header=BB2_24 Depth=1
	s_or_b64 exec, exec, s[14:15]
	v_add_u32_e32 v0, s73, v12
	v_ashrrev_i32_e32 v1, 31, v0
	v_lshl_add_u64 v[0:1], v[0:1], 1, s[18:19]
	global_load_dwordx2 v[0:1], v[0:1], off
	s_add_i32 s12, s12, s31
	v_and_b32_e32 v23, 7, v2
	v_bfe_u32 v24, v2, 3, 3
	v_bfe_u32 v25, v2, 6, 3
	;; [unrolled: 1-line block ×3, first 2 shown]
	s_waitcnt vmcnt(0)
	v_mul_u32_u24_sdwa v31, v0, s34 dst_sel:DWORD dst_unused:UNUSED_PAD src0_sel:WORD_0 src1_sel:DWORD
	v_mul_u32_u24_sdwa v30, v0, s34 dst_sel:DWORD dst_unused:UNUSED_PAD src0_sel:WORD_1 src1_sel:DWORD
	v_mul_u32_u24_sdwa v29, v1, s34 dst_sel:DWORD dst_unused:UNUSED_PAD src0_sel:WORD_0 src1_sel:DWORD
	v_mul_u32_u24_sdwa v28, v1, s34 dst_sel:DWORD dst_unused:UNUSED_PAD src0_sel:WORD_1 src1_sel:DWORD
.LBB2_42:                               ;   in Loop: Header=BB2_24 Depth=1
	global_load_dwordx4 v[8:11], v[16:17], off
	v_lshl_add_u64 v[0:1], v[16:17], 0, s[2:3]
	global_load_dwordx4 v[4:7], v[0:1], off
	v_lshl_add_u64 v[0:1], v[0:1], 0, s[2:3]
	global_load_dwordx4 v[0:3], v[0:1], off
	v_add_u32_e32 v37, v23, v13
	v_cvt_f32_u32_e32 v32, v37
	s_andn2_b64 vcc, exec, s[10:11]
	v_cvt_f16_f32_e32 v32, v32
	v_sub_f16_e32 v33, 0xd800, v32
	v_sub_f16_e32 v32, 0xcc00, v32
	v_mul_u32_u24_e32 v39, 0x10001, v32
	v_mul_u32_u24_e32 v38, 0x10001, v33
	s_waitcnt vmcnt(2)
	v_and_b32_e32 v32, 0x380038, v8
	v_lshrrev_b32_e32 v41, 6, v8
	v_and_b32_e32 v45, 0x70007, v10
	v_and_b32_e32 v46, 0x380038, v10
	v_lshrrev_b32_e32 v47, 6, v10
	v_lshrrev_b32_e32 v48, 15, v10
	v_and_b32_e32 v49, 0x70007, v11
	v_and_b32_e32 v50, 0x380038, v11
	v_lshrrev_b32_e32 v51, 6, v11
	v_lshrrev_b32_e32 v52, 15, v11
	s_waitcnt vmcnt(1)
	v_and_b32_e32 v10, 0x70007, v4
	v_and_b32_e32 v11, 0x380038, v4
	v_lshrrev_b32_e32 v53, 6, v4
	v_lshrrev_b32_e32 v4, 14, v4
	v_and_b32_e32 v54, 0x70007, v5
	v_and_b32_e32 v55, 0x380038, v5
	v_lshrrev_b32_e32 v56, 6, v5
	v_lshrrev_b32_e32 v57, 14, v5
	;; [unrolled: 4-line block ×4, first 2 shown]
	v_or_b32_e32 v5, 0x64006400, v32
	v_and_b32_e32 v6, 0x380038, v41
	v_and_b32_e32 v7, 0x1c001c0, v41
	;; [unrolled: 1-line block ×3, first 2 shown]
	v_lshrrev_b32_e32 v8, 15, v8
	s_waitcnt vmcnt(0)
	v_and_b32_e32 v66, 0x70007, v0
	v_and_b32_e32 v32, 0x380038, v0
	v_lshrrev_b32_e32 v67, 6, v0
	v_lshrrev_b32_e32 v0, 13, v0
	v_and_b32_e32 v68, 0x70007, v1
	v_and_b32_e32 v69, 0x380038, v1
	v_lshrrev_b32_e32 v70, 6, v1
	v_lshrrev_b32_e32 v71, 13, v1
	;; [unrolled: 4-line block ×3, first 2 shown]
	v_and_b32_e32 v1, 0x20002, v4
	v_or_b32_e32 v2, 0x64006400, v6
	v_pk_fma_f16 v34, v5, s71, v38 op_sel_hi:[1,0,1]
	v_and_b32_e32 v4, 0x380038, v53
	v_or_b32_e32 v5, 0x64006400, v7
	v_and_or_b32 v1, v8, s34, v1
	v_and_b32_e32 v0, 0x40004, v0
	v_or_b32_e32 v4, 0x64006400, v4
	v_pk_fma_f16 v35, v2, s71, v38 op_sel_hi:[1,0,1]
	v_and_b32_e32 v2, 0x380038, v67
	v_pk_fma_f16 v36, v5, s72, v39 op_sel_hi:[1,0,1]
	v_and_b32_e32 v5, 0x1c001c0, v67
	v_or_b32_e32 v7, 0x64006400, v32
	v_or3_b32 v8, v1, v0, s70
	v_or_b32_e32 v0, 0x64006400, v2
	v_pk_fma_f16 v32, v4, s71, v38 op_sel_hi:[1,0,1]
	v_or_b32_e32 v4, 0x64006400, v5
	v_and_b32_e32 v76, 0x70007, v3
	v_and_b32_e32 v77, 0x380038, v3
	v_lshrrev_b32_e32 v78, 6, v3
	v_lshrrev_b32_e32 v79, 13, v3
	v_or_b32_e32 v3, 0x64006400, v11
	v_and_b32_e32 v6, 0x1c001c0, v53
	v_pk_fma_f16 v2, v7, s71, v38 op_sel_hi:[1,0,1]
	v_pk_fma_f16 v1, v0, s71, v38 op_sel_hi:[1,0,1]
	;; [unrolled: 1-line block ×3, first 2 shown]
	v_mad_u32_u24 v4, v37, s34, v27
	v_or_b32_e32 v7, 0x64006400, v10
	v_and_b32_e32 v10, 0x70007, v53
	v_add_u32_e32 v53, v24, v13
	v_pk_fma_f16 v33, v3, s71, v38 op_sel_hi:[1,0,1]
	v_or_b32_e32 v3, 0x64006400, v6
	v_and_b32_e32 v6, 0x70007, v41
	v_pk_add_f16 v41, v4, v7
	v_cvt_f32_u32_e32 v7, v53
	v_or_b32_e32 v5, 0x64006400, v40
	v_or_b32_e32 v11, 0x64006400, v66
	v_pk_fma_f16 v3, v3, s72, v39 op_sel_hi:[1,0,1]
	v_and_b32_e32 v37, 0x70007, v67
	v_pk_add_f16 v39, v4, v5
	v_pk_add_f16 v5, v4, v11
	v_cvt_f16_f32_e32 v11, v7
	v_or_b32_e32 v6, 0x64006400, v6
	v_or_b32_e32 v10, 0x64006400, v10
	;; [unrolled: 1-line block ×3, first 2 shown]
	v_and_b32_e32 v42, 0x70007, v9
	v_and_b32_e32 v43, 0x380038, v9
	v_lshrrev_b32_e32 v44, 6, v9
	v_lshrrev_b32_e32 v9, 15, v9
	v_pk_add_f16 v40, v4, v6
	v_pk_add_f16 v38, v4, v10
	v_pk_add_f16 v6, v4, v37
	v_pk_add_f16 v4, v4, v8
	v_and_b32_e32 v8, 0x20002, v57
	v_and_or_b32 v7, v9, s34, v8
	v_and_b32_e32 v8, 0x40004, v71
	v_or3_b32 v8, v7, v8, s70
	v_sub_f16_e32 v7, 0xd800, v11
	v_and_b32_e32 v10, 0x380038, v44
	v_mul_u32_u24_e32 v7, 0x10001, v7
	v_or_b32_e32 v9, 0x64006400, v43
	v_or_b32_e32 v10, 0x64006400, v10
	;; [unrolled: 1-line block ×4, first 2 shown]
	v_and_b32_e32 v43, 0x380038, v56
	v_and_b32_e32 v57, 0x380038, v70
	v_pk_fma_f16 v66, v9, s71, v7 op_sel_hi:[1,0,1]
	v_pk_fma_f16 v67, v10, s71, v7 op_sel_hi:[1,0,1]
	;; [unrolled: 1-line block ×4, first 2 shown]
	v_sub_f16_e32 v9, 0xcc00, v11
	v_and_b32_e32 v11, 0x1c001c0, v44
	v_and_b32_e32 v37, 0x1c001c0, v56
	;; [unrolled: 1-line block ×3, first 2 shown]
	v_or_b32_e32 v43, 0x64006400, v43
	v_or_b32_e32 v57, 0x64006400, v57
	v_mul_u32_u24_e32 v9, 0x10001, v9
	v_or_b32_e32 v11, 0x64006400, v11
	v_or_b32_e32 v37, 0x64006400, v37
	;; [unrolled: 1-line block ×3, first 2 shown]
	v_pk_fma_f16 v43, v43, s71, v7 op_sel_hi:[1,0,1]
	v_pk_fma_f16 v7, v57, s71, v7 op_sel_hi:[1,0,1]
	;; [unrolled: 1-line block ×5, first 2 shown]
	v_mad_u32_u24 v9, v53, s34, v27
	v_or_b32_e32 v55, 0x64006400, v68
	v_pk_add_f16 v107, v9, v55
	v_add_u32_e32 v55, v25, v13
	v_cvt_f32_u32_e32 v68, v55
	v_and_b32_e32 v44, 0x70007, v44
	v_or_b32_e32 v53, 0x64006400, v54
	v_and_b32_e32 v54, 0x70007, v56
	v_and_b32_e32 v56, 0x70007, v70
	v_or_b32_e32 v42, 0x64006400, v42
	v_or_b32_e32 v44, 0x64006400, v44
	;; [unrolled: 1-line block ×4, first 2 shown]
	v_pk_add_f16 v42, v9, v42
	v_pk_add_f16 v44, v9, v44
	;; [unrolled: 1-line block ×6, first 2 shown]
	v_cvt_f16_f32_e32 v9, v68
	v_and_b32_e32 v8, 0x20002, v61
	v_and_or_b32 v8, v48, s34, v8
	v_and_b32_e32 v48, 0x40004, v75
	v_or3_b32 v8, v8, v48, s70
	v_sub_f16_e32 v48, 0xd800, v9
	v_and_b32_e32 v56, 0x380038, v47
	v_and_b32_e32 v61, 0x380038, v60
	;; [unrolled: 1-line block ×3, first 2 shown]
	v_mul_u32_u24_e32 v48, 0x10001, v48
	v_or_b32_e32 v46, 0x64006400, v46
	v_or_b32_e32 v56, 0x64006400, v56
	;; [unrolled: 1-line block ×6, first 2 shown]
	v_pk_fma_f16 v46, v46, s71, v48 op_sel_hi:[1,0,1]
	v_pk_fma_f16 v56, v56, s71, v48 op_sel_hi:[1,0,1]
	;; [unrolled: 1-line block ×6, first 2 shown]
	v_sub_f16_e32 v9, 0xcc00, v9
	v_and_b32_e32 v48, 0x1c001c0, v47
	v_and_b32_e32 v68, 0x1c001c0, v60
	;; [unrolled: 1-line block ×3, first 2 shown]
	v_mul_u32_u24_e32 v9, 0x10001, v9
	v_or_b32_e32 v48, 0x64006400, v48
	v_or_b32_e32 v68, 0x64006400, v68
	;; [unrolled: 1-line block ×3, first 2 shown]
	v_pk_fma_f16 v48, v48, s72, v9 op_sel_hi:[1,0,1]
	v_pk_fma_f16 v111, v68, s72, v9 op_sel_hi:[1,0,1]
	;; [unrolled: 1-line block ×3, first 2 shown]
	v_mad_u32_u24 v9, v55, s34, v27
	v_or_b32_e32 v55, 0x64006400, v58
	v_and_b32_e32 v58, 0x70007, v60
	v_or_b32_e32 v58, 0x64006400, v58
	v_or_b32_e32 v60, 0x64006400, v72
	v_pk_add_f16 v70, v9, v58
	v_add_u32_e32 v58, v26, v13
	v_pk_add_f16 v113, v9, v60
	v_cvt_f32_u32_e32 v60, v58
	v_and_b32_e32 v47, 0x70007, v47
	v_and_b32_e32 v68, 0x70007, v74
	v_or_b32_e32 v45, 0x64006400, v45
	v_or_b32_e32 v47, 0x64006400, v47
	;; [unrolled: 1-line block ×3, first 2 shown]
	v_pk_add_f16 v45, v9, v45
	v_pk_add_f16 v47, v9, v47
	v_pk_add_f16 v55, v9, v55
	v_pk_add_f16 v114, v9, v68
	v_pk_add_f16 v115, v9, v8
	v_cvt_f16_f32_e32 v9, v60
	v_and_b32_e32 v8, 0x20002, v65
	v_and_or_b32 v8, v52, s34, v8
	v_and_b32_e32 v52, 0x40004, v79
	v_or3_b32 v8, v8, v52, s70
	v_sub_f16_e32 v52, 0xd800, v9
	v_and_b32_e32 v60, 0x380038, v51
	v_and_b32_e32 v65, 0x380038, v64
	;; [unrolled: 1-line block ×3, first 2 shown]
	v_mul_u32_u24_e32 v52, 0x10001, v52
	v_or_b32_e32 v50, 0x64006400, v50
	v_or_b32_e32 v60, 0x64006400, v60
	;; [unrolled: 1-line block ×6, first 2 shown]
	v_pk_fma_f16 v50, v50, s71, v52 op_sel_hi:[1,0,1]
	v_pk_fma_f16 v60, v60, s71, v52 op_sel_hi:[1,0,1]
	;; [unrolled: 1-line block ×6, first 2 shown]
	v_sub_f16_e32 v9, 0xcc00, v9
	v_and_b32_e32 v52, 0x1c001c0, v51
	v_and_b32_e32 v63, 0x1c001c0, v64
	;; [unrolled: 1-line block ×3, first 2 shown]
	v_mul_u32_u24_e32 v9, 0x10001, v9
	v_or_b32_e32 v52, 0x64006400, v52
	v_or_b32_e32 v63, 0x64006400, v63
	;; [unrolled: 1-line block ×3, first 2 shown]
	v_pk_fma_f16 v52, v52, s72, v9 op_sel_hi:[1,0,1]
	v_pk_fma_f16 v118, v63, s72, v9 op_sel_hi:[1,0,1]
	;; [unrolled: 1-line block ×3, first 2 shown]
	v_mad_u32_u24 v9, v58, s34, v27
	v_or_b32_e32 v49, 0x64006400, v49
	v_and_b32_e32 v51, 0x70007, v51
	v_or_b32_e32 v58, 0x64006400, v62
	v_and_b32_e32 v62, 0x70007, v64
	v_pk_add_f16 v49, v9, v49
	v_or_b32_e32 v51, 0x64006400, v51
	v_or_b32_e32 v62, 0x64006400, v62
	v_and_b32_e32 v64, 0x70007, v78
	v_pk_mul_f16 v79, v31, v39
	v_pk_mul_f16 v39, v30, v42
	;; [unrolled: 1-line block ×3, first 2 shown]
	v_or_b32_e32 v63, 0x64006400, v76
	v_or_b32_e32 v64, 0x64006400, v64
	v_pk_add_f16 v51, v9, v51
	v_pk_add_f16 v58, v9, v58
	;; [unrolled: 1-line block ×4, first 2 shown]
	v_pk_mul_f16 v81, v29, v45
	v_lshlrev_b32_e32 v8, 16, v42
	v_lshlrev_b32_e32 v45, 16, v39
	v_pk_add_f16 v120, v9, v63
	v_pk_add_f16 v121, v9, v64
	v_or_b32_sdwa v9, v8, v81 dst_sel:DWORD dst_unused:UNUSED_PAD src0_sel:DWORD src1_sel:WORD_0
	v_or_b32_sdwa v8, v45, v79 dst_sel:DWORD dst_unused:UNUSED_PAD src0_sel:DWORD src1_sel:WORD_0
	v_pk_mul_f16 v88, v31, v34
	v_pk_mul_f16 v34, v30, v66
	;; [unrolled: 1-line block ×32, first 2 shown]
	v_and_b32_e32 v104, 0xffff0000, v42
	v_and_b32_e32 v105, 0xffff0000, v39
	v_lshlrev_b32_e32 v102, 16, v45
	v_and_b32_e32 v100, 0xffff0000, v45
	v_lshlrev_b32_e32 v103, 16, v34
	;; [unrolled: 2-line block ×16, first 2 shown]
	v_and_b32_e32 v61, 0xffff0000, v32
	v_pk_mul_f16 v54, v31, v3
	v_pk_mul_f16 v55, v30, v37
	;; [unrolled: 1-line block ×28, first 2 shown]
	s_cbranch_vccnz .LBB2_44
; %bb.43:                               ;   in Loop: Header=BB2_24 Depth=1
	v_mov_b32_e32 v106, s68
	ds_read_b128 v[108:111], v106
	ds_read_b128 v[112:115], v106 offset:16
	ds_read_b128 v[116:119], v106 offset:32
	;; [unrolled: 1-line block ×3, first 2 shown]
	s_waitcnt lgkmcnt(3)
	v_mul_lo_u32 v107, v108, s35
	v_mul_lo_u32 v108, v109, s13
	v_add_u32_e32 v120, v107, v12
	v_add_u32_e32 v108, v108, v15
	v_ashrrev_i32_e32 v121, 31, v120
	v_lshl_add_u64 v[120:121], v[120:121], 1, s[20:21]
	v_ashrrev_i32_e32 v109, 31, v108
	global_store_dwordx2 v[120:121], v[8:9], off
	v_lshl_add_u64 v[108:109], v[108:109], 1, s[20:21]
	v_or_b32_sdwa v121, v104, v81 dst_sel:DWORD dst_unused:UNUSED_PAD src0_sel:DWORD src1_sel:WORD_1
	v_or_b32_sdwa v120, v105, v79 dst_sel:DWORD dst_unused:UNUSED_PAD src0_sel:DWORD src1_sel:WORD_1
	v_mul_lo_u32 v107, v110, s35
	global_store_dwordx2 v[108:109], v[120:121], off
	v_mul_lo_u32 v110, v111, s13
	v_add_u32_e32 v120, v107, v12
	v_add_u32_e32 v110, v110, v15
	v_ashrrev_i32_e32 v121, 31, v120
	v_or_b32_sdwa v109, v102, v91 dst_sel:DWORD dst_unused:UNUSED_PAD src0_sel:DWORD src1_sel:WORD_0
	v_or_b32_sdwa v108, v103, v88 dst_sel:DWORD dst_unused:UNUSED_PAD src0_sel:DWORD src1_sel:WORD_0
	v_lshl_add_u64 v[120:121], v[120:121], 1, s[20:21]
	v_ashrrev_i32_e32 v111, 31, v110
	global_store_dwordx2 v[120:121], v[108:109], off
	v_lshl_add_u64 v[108:109], v[110:111], 1, s[20:21]
	v_or_b32_sdwa v111, v100, v91 dst_sel:DWORD dst_unused:UNUSED_PAD src0_sel:DWORD src1_sel:WORD_1
	v_or_b32_sdwa v110, v101, v88 dst_sel:DWORD dst_unused:UNUSED_PAD src0_sel:DWORD src1_sel:WORD_1
	s_waitcnt lgkmcnt(2)
	v_mul_lo_u32 v107, v112, s35
	global_store_dwordx2 v[108:109], v[110:111], off
	v_mul_lo_u32 v110, v113, s13
	v_add_u32_e32 v112, v107, v12
	v_add_u32_e32 v110, v110, v15
	v_ashrrev_i32_e32 v113, 31, v112
	v_or_b32_sdwa v109, v98, v84 dst_sel:DWORD dst_unused:UNUSED_PAD src0_sel:DWORD src1_sel:WORD_0
	v_or_b32_sdwa v108, v99, v82 dst_sel:DWORD dst_unused:UNUSED_PAD src0_sel:DWORD src1_sel:WORD_0
	v_lshl_add_u64 v[112:113], v[112:113], 1, s[20:21]
	v_ashrrev_i32_e32 v111, 31, v110
	global_store_dwordx2 v[112:113], v[108:109], off
	v_lshl_add_u64 v[108:109], v[110:111], 1, s[20:21]
	v_or_b32_sdwa v111, v96, v84 dst_sel:DWORD dst_unused:UNUSED_PAD src0_sel:DWORD src1_sel:WORD_1
	v_or_b32_sdwa v110, v97, v82 dst_sel:DWORD dst_unused:UNUSED_PAD src0_sel:DWORD src1_sel:WORD_1
	v_mul_lo_u32 v107, v114, s35
	global_store_dwordx2 v[108:109], v[110:111], off
	v_mul_lo_u32 v110, v115, s13
	v_add_u32_e32 v112, v107, v12
	v_add_u32_e32 v110, v110, v15
	v_ashrrev_i32_e32 v113, 31, v112
	v_or_b32_sdwa v109, v94, v76 dst_sel:DWORD dst_unused:UNUSED_PAD src0_sel:DWORD src1_sel:WORD_0
	v_or_b32_sdwa v108, v95, v74 dst_sel:DWORD dst_unused:UNUSED_PAD src0_sel:DWORD src1_sel:WORD_0
	v_lshl_add_u64 v[112:113], v[112:113], 1, s[20:21]
	v_ashrrev_i32_e32 v111, 31, v110
	global_store_dwordx2 v[112:113], v[108:109], off
	v_lshl_add_u64 v[108:109], v[110:111], 1, s[20:21]
	v_or_b32_sdwa v111, v92, v76 dst_sel:DWORD dst_unused:UNUSED_PAD src0_sel:DWORD src1_sel:WORD_1
	v_or_b32_sdwa v110, v93, v74 dst_sel:DWORD dst_unused:UNUSED_PAD src0_sel:DWORD src1_sel:WORD_1
	s_waitcnt lgkmcnt(1)
	v_mul_lo_u32 v107, v116, s35
	global_store_dwordx2 v[108:109], v[110:111], off
	v_mul_lo_u32 v110, v117, s13
	v_add_u32_e32 v112, v107, v12
	v_add_u32_e32 v110, v110, v15
	v_ashrrev_i32_e32 v113, 31, v112
	v_or_b32_sdwa v109, v89, v69 dst_sel:DWORD dst_unused:UNUSED_PAD src0_sel:DWORD src1_sel:WORD_0
	v_or_b32_sdwa v108, v90, v68 dst_sel:DWORD dst_unused:UNUSED_PAD src0_sel:DWORD src1_sel:WORD_0
	;; [unrolled: 29-line block ×3, first 2 shown]
	v_lshl_add_u64 v[110:111], v[110:111], 1, s[20:21]
	v_ashrrev_i32_e32 v1, 31, v0
	global_store_dwordx2 v[110:111], v[108:109], off
	v_lshl_add_u64 v[0:1], v[0:1], 1, s[20:21]
	v_or_b32_sdwa v109, v72, v59 dst_sel:DWORD dst_unused:UNUSED_PAD src0_sel:DWORD src1_sel:WORD_1
	v_or_b32_sdwa v108, v73, v58 dst_sel:DWORD dst_unused:UNUSED_PAD src0_sel:DWORD src1_sel:WORD_1
	v_mul_lo_u32 v107, v2, s35
	global_store_dwordx2 v[0:1], v[108:109], off
	v_mul_lo_u32 v2, v3, s13
	v_add_u32_e32 v108, v107, v12
	v_add_u32_e32 v2, v2, v15
	v_ashrrev_i32_e32 v109, 31, v108
	v_or_b32_sdwa v1, v70, v53 dst_sel:DWORD dst_unused:UNUSED_PAD src0_sel:DWORD src1_sel:WORD_0
	v_or_b32_sdwa v0, v71, v52 dst_sel:DWORD dst_unused:UNUSED_PAD src0_sel:DWORD src1_sel:WORD_0
	v_lshl_add_u64 v[108:109], v[108:109], 1, s[20:21]
	v_ashrrev_i32_e32 v3, 31, v2
	global_store_dwordx2 v[108:109], v[0:1], off
	v_lshl_add_u64 v[108:109], v[2:3], 1, s[20:21]
	ds_read_b128 v[0:3], v106 offset:64
	v_or_b32_sdwa v111, v66, v53 dst_sel:DWORD dst_unused:UNUSED_PAD src0_sel:DWORD src1_sel:WORD_1
	v_or_b32_sdwa v110, v67, v52 dst_sel:DWORD dst_unused:UNUSED_PAD src0_sel:DWORD src1_sel:WORD_1
	global_store_dwordx2 v[108:109], v[110:111], off
	ds_read_b128 v[108:111], v106 offset:80
	s_waitcnt lgkmcnt(1)
	v_mul_lo_u32 v107, v0, s35
	v_mul_lo_u32 v0, v1, s13
	v_add_u32_e32 v114, v107, v12
	v_add_u32_e32 v0, v0, v15
	v_ashrrev_i32_e32 v115, 31, v114
	v_or_b32_sdwa v113, v64, v48 dst_sel:DWORD dst_unused:UNUSED_PAD src0_sel:DWORD src1_sel:WORD_0
	v_or_b32_sdwa v112, v65, v46 dst_sel:DWORD dst_unused:UNUSED_PAD src0_sel:DWORD src1_sel:WORD_0
	v_lshl_add_u64 v[114:115], v[114:115], 1, s[20:21]
	v_ashrrev_i32_e32 v1, 31, v0
	global_store_dwordx2 v[114:115], v[112:113], off
	v_lshl_add_u64 v[0:1], v[0:1], 1, s[20:21]
	v_or_b32_sdwa v113, v60, v48 dst_sel:DWORD dst_unused:UNUSED_PAD src0_sel:DWORD src1_sel:WORD_1
	v_or_b32_sdwa v112, v61, v46 dst_sel:DWORD dst_unused:UNUSED_PAD src0_sel:DWORD src1_sel:WORD_1
	global_store_dwordx2 v[0:1], v[112:113], off
	v_lshlrev_b32_e32 v0, 16, v57
	v_lshlrev_b32_e32 v107, 16, v55
	v_or_b32_sdwa v1, v0, v56 dst_sel:DWORD dst_unused:UNUSED_PAD src0_sel:DWORD src1_sel:WORD_0
	v_or_b32_sdwa v0, v107, v54 dst_sel:DWORD dst_unused:UNUSED_PAD src0_sel:DWORD src1_sel:WORD_0
	v_mul_lo_u32 v107, v2, s35
	v_mul_lo_u32 v2, v3, s13
	v_add_u32_e32 v112, v107, v12
	v_add_u32_e32 v2, v2, v15
	v_ashrrev_i32_e32 v113, 31, v112
	v_lshl_add_u64 v[112:113], v[112:113], 1, s[20:21]
	v_ashrrev_i32_e32 v3, 31, v2
	global_store_dwordx2 v[112:113], v[0:1], off
	v_lshl_add_u64 v[0:1], v[2:3], 1, s[20:21]
	v_and_b32_e32 v2, 0xffff0000, v57
	v_and_b32_e32 v107, 0xffff0000, v55
	v_or_b32_sdwa v3, v2, v56 dst_sel:DWORD dst_unused:UNUSED_PAD src0_sel:DWORD src1_sel:WORD_1
	v_or_b32_sdwa v2, v107, v54 dst_sel:DWORD dst_unused:UNUSED_PAD src0_sel:DWORD src1_sel:WORD_1
	global_store_dwordx2 v[0:1], v[2:3], off
	v_lshlrev_b32_e32 v0, 16, v51
	v_lshlrev_b32_e32 v2, 16, v49
	s_waitcnt lgkmcnt(0)
	v_mul_lo_u32 v3, v108, s35
	v_or_b32_sdwa v1, v0, v50 dst_sel:DWORD dst_unused:UNUSED_PAD src0_sel:DWORD src1_sel:WORD_0
	v_or_b32_sdwa v0, v2, v47 dst_sel:DWORD dst_unused:UNUSED_PAD src0_sel:DWORD src1_sel:WORD_0
	v_mul_lo_u32 v2, v109, s13
	v_add_u32_e32 v108, v3, v12
	v_add_u32_e32 v2, v2, v15
	v_ashrrev_i32_e32 v109, 31, v108
	v_lshl_add_u64 v[108:109], v[108:109], 1, s[20:21]
	v_ashrrev_i32_e32 v3, 31, v2
	global_store_dwordx2 v[108:109], v[0:1], off
	v_lshl_add_u64 v[0:1], v[2:3], 1, s[20:21]
	v_and_b32_e32 v2, 0xffff0000, v51
	v_and_b32_e32 v107, 0xffff0000, v49
	v_or_b32_sdwa v3, v2, v50 dst_sel:DWORD dst_unused:UNUSED_PAD src0_sel:DWORD src1_sel:WORD_1
	v_or_b32_sdwa v2, v107, v47 dst_sel:DWORD dst_unused:UNUSED_PAD src0_sel:DWORD src1_sel:WORD_1
	global_store_dwordx2 v[0:1], v[2:3], off
	v_mul_lo_u32 v3, v110, s35
	v_add_u32_e32 v108, v3, v12
	v_lshlrev_b32_e32 v0, 16, v45
	v_lshlrev_b32_e32 v2, 16, v43
	v_ashrrev_i32_e32 v109, 31, v108
	v_or_b32_sdwa v1, v0, v44 dst_sel:DWORD dst_unused:UNUSED_PAD src0_sel:DWORD src1_sel:WORD_0
	v_or_b32_sdwa v0, v2, v42 dst_sel:DWORD dst_unused:UNUSED_PAD src0_sel:DWORD src1_sel:WORD_0
	v_mul_lo_u32 v2, v111, s13
	v_lshl_add_u64 v[108:109], v[108:109], 1, s[20:21]
	v_add_u32_e32 v2, v2, v15
	global_store_dwordx2 v[108:109], v[0:1], off
	ds_read_b128 v[108:111], v106 offset:96
	v_ashrrev_i32_e32 v3, 31, v2
	v_lshl_add_u64 v[0:1], v[2:3], 1, s[20:21]
	v_and_b32_e32 v2, 0xffff0000, v45
	v_and_b32_e32 v107, 0xffff0000, v43
	v_or_b32_sdwa v3, v2, v44 dst_sel:DWORD dst_unused:UNUSED_PAD src0_sel:DWORD src1_sel:WORD_1
	v_or_b32_sdwa v2, v107, v42 dst_sel:DWORD dst_unused:UNUSED_PAD src0_sel:DWORD src1_sel:WORD_1
	global_store_dwordx2 v[0:1], v[2:3], off
	v_lshlrev_b32_e32 v0, 16, v41
	v_lshlrev_b32_e32 v1, 16, v39
	v_or_b32_sdwa v113, v0, v40 dst_sel:DWORD dst_unused:UNUSED_PAD src0_sel:DWORD src1_sel:WORD_0
	v_or_b32_sdwa v112, v1, v38 dst_sel:DWORD dst_unused:UNUSED_PAD src0_sel:DWORD src1_sel:WORD_0
	ds_read_b128 v[0:3], v106 offset:112
	s_waitcnt lgkmcnt(1)
	v_mul_lo_u32 v107, v108, s35
	v_add_u32_e32 v108, v107, v12
	v_mul_lo_u32 v106, v109, s13
	v_ashrrev_i32_e32 v109, 31, v108
	v_add_u32_e32 v106, v106, v15
	v_lshl_add_u64 v[108:109], v[108:109], 1, s[20:21]
	global_store_dwordx2 v[108:109], v[112:113], off
	v_ashrrev_i32_e32 v107, 31, v106
	v_and_b32_e32 v108, 0xffff0000, v41
	v_and_b32_e32 v112, 0xffff0000, v39
	v_lshl_add_u64 v[106:107], v[106:107], 1, s[20:21]
	v_or_b32_sdwa v109, v108, v40 dst_sel:DWORD dst_unused:UNUSED_PAD src0_sel:DWORD src1_sel:WORD_1
	v_or_b32_sdwa v108, v112, v38 dst_sel:DWORD dst_unused:UNUSED_PAD src0_sel:DWORD src1_sel:WORD_1
	global_store_dwordx2 v[106:107], v[108:109], off
	v_lshlrev_b32_e32 v106, 16, v37
	v_lshlrev_b32_e32 v108, 16, v35
	v_mul_lo_u32 v109, v110, s35
	v_or_b32_sdwa v107, v106, v36 dst_sel:DWORD dst_unused:UNUSED_PAD src0_sel:DWORD src1_sel:WORD_0
	v_or_b32_sdwa v106, v108, v34 dst_sel:DWORD dst_unused:UNUSED_PAD src0_sel:DWORD src1_sel:WORD_0
	v_mul_lo_u32 v108, v111, s13
	v_add_u32_e32 v110, v109, v12
	v_add_u32_e32 v108, v108, v15
	v_ashrrev_i32_e32 v111, 31, v110
	v_lshl_add_u64 v[110:111], v[110:111], 1, s[20:21]
	v_ashrrev_i32_e32 v109, 31, v108
	global_store_dwordx2 v[110:111], v[106:107], off
	v_lshl_add_u64 v[106:107], v[108:109], 1, s[20:21]
	v_and_b32_e32 v108, 0xffff0000, v37
	v_and_b32_e32 v110, 0xffff0000, v35
	v_or_b32_sdwa v109, v108, v36 dst_sel:DWORD dst_unused:UNUSED_PAD src0_sel:DWORD src1_sel:WORD_1
	v_or_b32_sdwa v108, v110, v34 dst_sel:DWORD dst_unused:UNUSED_PAD src0_sel:DWORD src1_sel:WORD_1
	global_store_dwordx2 v[106:107], v[108:109], off
	v_lshlrev_b32_e32 v106, 16, v33
	v_lshlrev_b32_e32 v108, 16, v11
	v_or_b32_sdwa v107, v106, v32 dst_sel:DWORD dst_unused:UNUSED_PAD src0_sel:DWORD src1_sel:WORD_0
	v_or_b32_sdwa v106, v108, v10 dst_sel:DWORD dst_unused:UNUSED_PAD src0_sel:DWORD src1_sel:WORD_0
	s_waitcnt lgkmcnt(0)
	v_mul_lo_u32 v108, v0, s35
	v_add_u32_e32 v108, v108, v12
	v_mul_lo_u32 v0, v1, s13
	v_ashrrev_i32_e32 v109, 31, v108
	v_add_u32_e32 v0, v0, v15
	v_lshl_add_u64 v[108:109], v[108:109], 1, s[20:21]
	global_store_dwordx2 v[108:109], v[106:107], off
	v_ashrrev_i32_e32 v1, 31, v0
	v_and_b32_e32 v106, 0xffff0000, v33
	v_and_b32_e32 v108, 0xffff0000, v11
	v_lshl_add_u64 v[0:1], v[0:1], 1, s[20:21]
	v_or_b32_sdwa v107, v106, v32 dst_sel:DWORD dst_unused:UNUSED_PAD src0_sel:DWORD src1_sel:WORD_1
	v_or_b32_sdwa v106, v108, v10 dst_sel:DWORD dst_unused:UNUSED_PAD src0_sel:DWORD src1_sel:WORD_1
	global_store_dwordx2 v[0:1], v[106:107], off
	v_mul_lo_u32 v0, v2, s13
	v_add_u32_e32 v0, v0, v12
	v_ashrrev_i32_e32 v1, 31, v0
	v_lshlrev_b32_e32 v2, 16, v7
	v_lshlrev_b32_e32 v106, 16, v6
	v_lshl_add_u64 v[0:1], v[0:1], 1, s[20:21]
	v_or_b32_sdwa v107, v2, v5 dst_sel:DWORD dst_unused:UNUSED_PAD src0_sel:DWORD src1_sel:WORD_0
	v_or_b32_sdwa v106, v106, v4 dst_sel:DWORD dst_unused:UNUSED_PAD src0_sel:DWORD src1_sel:WORD_0
	global_store_dwordx2 v[0:1], v[106:107], off
	s_cbranch_execnz .LBB2_23
	s_branch .LBB2_45
.LBB2_44:                               ;   in Loop: Header=BB2_24 Depth=1
                                        ; implicit-def: $vgpr3
.LBB2_45:                               ;   in Loop: Header=BB2_24 Depth=1
	v_add_u32_e32 v0, s67, v18
	v_ashrrev_i32_e32 v1, 31, v0
	v_lshl_add_u64 v[0:1], v[0:1], 1, s[20:21]
	global_store_dwordx2 v[0:1], v[8:9], off
	v_add_u32_e32 v0, s66, v18
	v_ashrrev_i32_e32 v1, 31, v0
	v_lshl_add_u64 v[0:1], v[0:1], 1, s[20:21]
	v_or_b32_sdwa v3, v104, v81 dst_sel:DWORD dst_unused:UNUSED_PAD src0_sel:DWORD src1_sel:WORD_1
	v_or_b32_sdwa v2, v105, v79 dst_sel:DWORD dst_unused:UNUSED_PAD src0_sel:DWORD src1_sel:WORD_1
	global_store_dwordx2 v[0:1], v[2:3], off
	v_add_u32_e32 v0, s64, v18
	v_ashrrev_i32_e32 v1, 31, v0
	v_lshl_add_u64 v[0:1], v[0:1], 1, s[20:21]
	v_or_b32_sdwa v3, v102, v91 dst_sel:DWORD dst_unused:UNUSED_PAD src0_sel:DWORD src1_sel:WORD_0
	v_or_b32_sdwa v2, v103, v88 dst_sel:DWORD dst_unused:UNUSED_PAD src0_sel:DWORD src1_sel:WORD_0
	global_store_dwordx2 v[0:1], v[2:3], off
	v_add_u32_e32 v0, s65, v18
	v_ashrrev_i32_e32 v1, 31, v0
	v_lshl_add_u64 v[0:1], v[0:1], 1, s[20:21]
	v_or_b32_sdwa v3, v100, v91 dst_sel:DWORD dst_unused:UNUSED_PAD src0_sel:DWORD src1_sel:WORD_1
	v_or_b32_sdwa v2, v101, v88 dst_sel:DWORD dst_unused:UNUSED_PAD src0_sel:DWORD src1_sel:WORD_1
	global_store_dwordx2 v[0:1], v[2:3], off
	v_add_u32_e32 v0, s62, v18
	v_ashrrev_i32_e32 v1, 31, v0
	v_lshl_add_u64 v[0:1], v[0:1], 1, s[20:21]
	v_or_b32_sdwa v3, v98, v84 dst_sel:DWORD dst_unused:UNUSED_PAD src0_sel:DWORD src1_sel:WORD_0
	v_or_b32_sdwa v2, v99, v82 dst_sel:DWORD dst_unused:UNUSED_PAD src0_sel:DWORD src1_sel:WORD_0
	;; [unrolled: 12-line block ×8, first 2 shown]
	global_store_dwordx2 v[0:1], v[2:3], off
	v_add_u32_e32 v0, s51, v18
	v_ashrrev_i32_e32 v1, 31, v0
	v_lshl_add_u64 v[0:1], v[0:1], 1, s[20:21]
	v_or_b32_sdwa v3, v60, v48 dst_sel:DWORD dst_unused:UNUSED_PAD src0_sel:DWORD src1_sel:WORD_1
	v_or_b32_sdwa v2, v61, v46 dst_sel:DWORD dst_unused:UNUSED_PAD src0_sel:DWORD src1_sel:WORD_1
	global_store_dwordx2 v[0:1], v[2:3], off
	v_add_u32_e32 v0, s48, v18
	v_ashrrev_i32_e32 v1, 31, v0
	v_lshlrev_b32_e32 v2, 16, v57
	v_lshlrev_b32_e32 v8, 16, v55
	v_lshl_add_u64 v[0:1], v[0:1], 1, s[20:21]
	v_or_b32_sdwa v3, v2, v56 dst_sel:DWORD dst_unused:UNUSED_PAD src0_sel:DWORD src1_sel:WORD_0
	v_or_b32_sdwa v2, v8, v54 dst_sel:DWORD dst_unused:UNUSED_PAD src0_sel:DWORD src1_sel:WORD_0
	global_store_dwordx2 v[0:1], v[2:3], off
	v_add_u32_e32 v0, s49, v18
	v_ashrrev_i32_e32 v1, 31, v0
	v_and_b32_e32 v2, 0xffff0000, v57
	v_and_b32_e32 v8, 0xffff0000, v55
	v_lshl_add_u64 v[0:1], v[0:1], 1, s[20:21]
	v_or_b32_sdwa v3, v2, v56 dst_sel:DWORD dst_unused:UNUSED_PAD src0_sel:DWORD src1_sel:WORD_1
	v_or_b32_sdwa v2, v8, v54 dst_sel:DWORD dst_unused:UNUSED_PAD src0_sel:DWORD src1_sel:WORD_1
	global_store_dwordx2 v[0:1], v[2:3], off
	v_add_u32_e32 v0, s46, v18
	v_ashrrev_i32_e32 v1, 31, v0
	v_lshlrev_b32_e32 v2, 16, v51
	v_lshlrev_b32_e32 v8, 16, v49
	v_lshl_add_u64 v[0:1], v[0:1], 1, s[20:21]
	v_or_b32_sdwa v3, v2, v50 dst_sel:DWORD dst_unused:UNUSED_PAD src0_sel:DWORD src1_sel:WORD_0
	v_or_b32_sdwa v2, v8, v47 dst_sel:DWORD dst_unused:UNUSED_PAD src0_sel:DWORD src1_sel:WORD_0
	global_store_dwordx2 v[0:1], v[2:3], off
	v_add_u32_e32 v0, s47, v18
	v_ashrrev_i32_e32 v1, 31, v0
	v_and_b32_e32 v2, 0xffff0000, v51
	v_and_b32_e32 v8, 0xffff0000, v49
	;; [unrolled: 16-line block ×6, first 2 shown]
	v_lshl_add_u64 v[0:1], v[0:1], 1, s[20:21]
	v_or_b32_sdwa v3, v2, v32 dst_sel:DWORD dst_unused:UNUSED_PAD src0_sel:DWORD src1_sel:WORD_1
	v_or_b32_sdwa v2, v8, v10 dst_sel:DWORD dst_unused:UNUSED_PAD src0_sel:DWORD src1_sel:WORD_1
	global_store_dwordx2 v[0:1], v[2:3], off
	v_add_u32_e32 v0, s37, v18
	v_ashrrev_i32_e32 v1, 31, v0
	v_lshlrev_b32_e32 v2, 16, v7
	v_lshlrev_b32_e32 v8, 16, v6
	v_lshl_add_u64 v[0:1], v[0:1], 1, s[20:21]
	v_or_b32_sdwa v3, v2, v5 dst_sel:DWORD dst_unused:UNUSED_PAD src0_sel:DWORD src1_sel:WORD_0
	v_or_b32_sdwa v2, v8, v4 dst_sel:DWORD dst_unused:UNUSED_PAD src0_sel:DWORD src1_sel:WORD_0
	s_add_i32 s14, s30, 31
	global_store_dwordx2 v[0:1], v[2:3], off
	v_mov_b32_e32 v3, s14
	s_branch .LBB2_23
.LBB2_46:
	s_endpgm
	.section	.rodata,"a",@progbits
	.p2align	6, 0x0
	.amdhsa_kernel _ZN4vllm4gptq31reconstruct_exllama_3bit_kernelEPKjPKiS2_PK6__halfiiibPS5_
		.amdhsa_group_segment_fixed_size 512
		.amdhsa_private_segment_fixed_size 0
		.amdhsa_kernarg_size 56
		.amdhsa_user_sgpr_count 2
		.amdhsa_user_sgpr_dispatch_ptr 0
		.amdhsa_user_sgpr_queue_ptr 0
		.amdhsa_user_sgpr_kernarg_segment_ptr 1
		.amdhsa_user_sgpr_dispatch_id 0
		.amdhsa_user_sgpr_kernarg_preload_length 0
		.amdhsa_user_sgpr_kernarg_preload_offset 0
		.amdhsa_user_sgpr_private_segment_size 0
		.amdhsa_uses_dynamic_stack 0
		.amdhsa_enable_private_segment 0
		.amdhsa_system_sgpr_workgroup_id_x 1
		.amdhsa_system_sgpr_workgroup_id_y 1
		.amdhsa_system_sgpr_workgroup_id_z 0
		.amdhsa_system_sgpr_workgroup_info 0
		.amdhsa_system_vgpr_workitem_id 0
		.amdhsa_next_free_vgpr 123
		.amdhsa_next_free_sgpr 74
		.amdhsa_accum_offset 124
		.amdhsa_reserve_vcc 1
		.amdhsa_float_round_mode_32 0
		.amdhsa_float_round_mode_16_64 0
		.amdhsa_float_denorm_mode_32 3
		.amdhsa_float_denorm_mode_16_64 3
		.amdhsa_dx10_clamp 1
		.amdhsa_ieee_mode 1
		.amdhsa_fp16_overflow 0
		.amdhsa_tg_split 0
		.amdhsa_exception_fp_ieee_invalid_op 0
		.amdhsa_exception_fp_denorm_src 0
		.amdhsa_exception_fp_ieee_div_zero 0
		.amdhsa_exception_fp_ieee_overflow 0
		.amdhsa_exception_fp_ieee_underflow 0
		.amdhsa_exception_fp_ieee_inexact 0
		.amdhsa_exception_int_div_zero 0
	.end_amdhsa_kernel
	.text
.Lfunc_end2:
	.size	_ZN4vllm4gptq31reconstruct_exllama_3bit_kernelEPKjPKiS2_PK6__halfiiibPS5_, .Lfunc_end2-_ZN4vllm4gptq31reconstruct_exllama_3bit_kernelEPKjPKiS2_PK6__halfiiibPS5_
                                        ; -- End function
	.set _ZN4vllm4gptq31reconstruct_exllama_3bit_kernelEPKjPKiS2_PK6__halfiiibPS5_.num_vgpr, 123
	.set _ZN4vllm4gptq31reconstruct_exllama_3bit_kernelEPKjPKiS2_PK6__halfiiibPS5_.num_agpr, 0
	.set _ZN4vllm4gptq31reconstruct_exllama_3bit_kernelEPKjPKiS2_PK6__halfiiibPS5_.numbered_sgpr, 74
	.set _ZN4vllm4gptq31reconstruct_exllama_3bit_kernelEPKjPKiS2_PK6__halfiiibPS5_.num_named_barrier, 0
	.set _ZN4vllm4gptq31reconstruct_exllama_3bit_kernelEPKjPKiS2_PK6__halfiiibPS5_.private_seg_size, 0
	.set _ZN4vllm4gptq31reconstruct_exllama_3bit_kernelEPKjPKiS2_PK6__halfiiibPS5_.uses_vcc, 1
	.set _ZN4vllm4gptq31reconstruct_exllama_3bit_kernelEPKjPKiS2_PK6__halfiiibPS5_.uses_flat_scratch, 0
	.set _ZN4vllm4gptq31reconstruct_exllama_3bit_kernelEPKjPKiS2_PK6__halfiiibPS5_.has_dyn_sized_stack, 0
	.set _ZN4vllm4gptq31reconstruct_exllama_3bit_kernelEPKjPKiS2_PK6__halfiiibPS5_.has_recursion, 0
	.set _ZN4vllm4gptq31reconstruct_exllama_3bit_kernelEPKjPKiS2_PK6__halfiiibPS5_.has_indirect_call, 0
	.section	.AMDGPU.csdata,"",@progbits
; Kernel info:
; codeLenInByte = 7996
; TotalNumSgprs: 80
; NumVgprs: 123
; NumAgprs: 0
; TotalNumVgprs: 123
; ScratchSize: 0
; MemoryBound: 0
; FloatMode: 240
; IeeeMode: 1
; LDSByteSize: 512 bytes/workgroup (compile time only)
; SGPRBlocks: 9
; VGPRBlocks: 15
; NumSGPRsForWavesPerEU: 80
; NumVGPRsForWavesPerEU: 123
; AccumOffset: 124
; Occupancy: 4
; WaveLimiterHint : 0
; COMPUTE_PGM_RSRC2:SCRATCH_EN: 0
; COMPUTE_PGM_RSRC2:USER_SGPR: 2
; COMPUTE_PGM_RSRC2:TRAP_HANDLER: 0
; COMPUTE_PGM_RSRC2:TGID_X_EN: 1
; COMPUTE_PGM_RSRC2:TGID_Y_EN: 1
; COMPUTE_PGM_RSRC2:TGID_Z_EN: 0
; COMPUTE_PGM_RSRC2:TIDIG_COMP_CNT: 0
; COMPUTE_PGM_RSRC3_GFX90A:ACCUM_OFFSET: 30
; COMPUTE_PGM_RSRC3_GFX90A:TG_SPLIT: 0
	.text
	.protected	_ZN4vllm4gptq31reconstruct_exllama_2bit_kernelEPKjPKiS2_PK6__halfiiibPS5_ ; -- Begin function _ZN4vllm4gptq31reconstruct_exllama_2bit_kernelEPKjPKiS2_PK6__halfiiibPS5_
	.globl	_ZN4vllm4gptq31reconstruct_exllama_2bit_kernelEPKjPKiS2_PK6__halfiiibPS5_
	.p2align	8
	.type	_ZN4vllm4gptq31reconstruct_exllama_2bit_kernelEPKjPKiS2_PK6__halfiiibPS5_,@function
_ZN4vllm4gptq31reconstruct_exllama_2bit_kernelEPKjPKiS2_PK6__halfiiibPS5_: ; @_ZN4vllm4gptq31reconstruct_exllama_2bit_kernelEPKjPKiS2_PK6__halfiiibPS5_
; %bb.0:
	s_load_dwordx2 s[8:9], s[0:1], 0x8
	s_load_dwordx4 s[4:7], s[0:1], 0x20
	s_lshl_b32 s16, s3, 7
	s_waitcnt lgkmcnt(0)
	s_cmp_lg_u64 s[8:9], 0
	s_cselect_b64 s[12:13], -1, 0
	s_cmp_eq_u64 s[8:9], 0
	s_cbranch_scc1 .LBB3_4
; %bb.1:
	v_add_u32_e32 v2, s16, v0
	v_cmp_gt_u32_e32 vcc, s4, v2
	s_and_saveexec_b64 s[10:11], vcc
	s_cbranch_execz .LBB3_3
; %bb.2:
	v_mov_b32_e32 v3, 0
	v_lshl_add_u64 v[2:3], v[2:3], 2, s[8:9]
	global_load_dword v1, v[2:3], off
	v_lshlrev_b32_e32 v2, 2, v0
	s_waitcnt vmcnt(0)
	ds_write_b32 v2, v1
.LBB3_3:
	s_or_b64 exec, exec, s[10:11]
.LBB3_4:
	s_lshl_b32 s2, s2, 9
	v_lshlrev_b32_e32 v16, 2, v0
	v_add_u32_e32 v8, s2, v16
	v_cmp_gt_i32_e32 vcc, s5, v8
	s_and_saveexec_b64 s[8:9], vcc
	s_cbranch_execz .LBB3_18
; %bb.5:
	s_abs_i32 s8, s6
	v_cvt_f32_u32_e32 v1, s8
	s_sub_i32 s11, 0, s8
	s_abs_i32 s10, s4
	s_xor_b32 s6, s4, s6
	v_rcp_iflag_f32_e32 v1, v1
	s_add_i32 s9, s16, 0x80
	s_ashr_i32 s6, s6, 31
	v_cvt_f64_i32_e32 v[2:3], s4
	v_mul_f32_e32 v1, 0x4f7ffffe, v1
	v_cvt_u32_f32_e32 v1, v1
	v_cvt_f64_u32_e32 v[4:5], s9
	v_min_f64 v[2:3], v[4:5], v[2:3]
	v_cvt_i32_f64_e32 v17, v[2:3]
	v_readfirstlane_b32 s14, v1
	s_mul_i32 s11, s11, s14
	s_mul_hi_u32 s11, s14, s11
	s_add_i32 s14, s14, s11
	s_mul_hi_u32 s11, s10, s14
	s_mul_i32 s14, s11, s8
	s_sub_i32 s10, s10, s14
	s_add_i32 s15, s11, 1
	s_sub_i32 s14, s10, s8
	s_cmp_ge_u32 s10, s8
	s_cselect_b32 s11, s15, s11
	s_cselect_b32 s10, s14, s10
	s_add_i32 s14, s11, 1
	s_cmp_ge_u32 s10, s8
	s_cselect_b32 s8, s14, s11
	s_xor_b32 s8, s8, s6
	s_sub_i32 s17, s8, s6
	v_cvt_f32_u32_e32 v1, s17
	v_cmp_ge_i32_e32 vcc, s16, v17
	s_mov_b32 s4, 0
	s_and_b64 vcc, exec, vcc
	v_rcp_iflag_f32_e32 v1, v1
	s_waitcnt lgkmcnt(0)
	s_barrier
	v_mul_f32_e32 v1, 0x4f7ffffe, v1
	v_cvt_u32_f32_e32 v1, v1
	s_nop 0
	v_readfirstlane_b32 s6, v1
	s_cbranch_vccnz .LBB3_18
; %bb.6:
	s_sub_i32 s14, 0, s17
	s_mul_i32 s14, s14, s6
	s_mul_hi_u32 s14, s6, s14
	s_add_i32 s6, s6, s14
	s_mul_hi_u32 s6, s16, s6
	s_mul_i32 s14, s6, s17
	s_sub_i32 s14, s16, s14
	s_add_i32 s15, s6, 1
	s_sub_i32 s18, s14, s17
	s_cmp_ge_u32 s14, s17
	s_cselect_b32 s6, s15, s6
	s_cselect_b32 s14, s18, s14
	s_add_i32 s15, s6, 1
	s_cmp_ge_u32 s14, s17
	s_cselect_b32 s18, s15, s6
	s_mul_i32 s6, s18, s5
	s_ashr_i32 s14, s6, 31
	v_ashrrev_i32_e32 v9, 31, v8
	s_load_dwordx4 s[8:11], s[0:1], 0x10
	s_lshr_b32 s14, s14, 28
	v_lshrrev_b32_e32 v1, 28, v9
	s_add_i32 s14, s6, s14
	v_add_u32_e32 v1, v8, v1
	s_ashr_i32 s14, s14, 4
	v_ashrrev_i32_e32 v18, 4, v1
	v_add_u32_e32 v4, s14, v18
	v_add_u32_e32 v2, s6, v8
	v_ashrrev_i32_e32 v5, 31, v4
	v_ashrrev_i32_e32 v3, 31, v2
	s_waitcnt lgkmcnt(0)
	v_lshl_add_u64 v[4:5], v[4:5], 2, s[8:9]
	v_lshl_add_u64 v[2:3], v[2:3], 1, s[10:11]
	global_load_dword v1, v[4:5], off
	s_bitcmp1_b32 s7, 0
	global_load_dwordx2 v[2:3], v[2:3], off
	s_cselect_b64 s[6:7], -1, 0
	s_load_dwordx2 s[22:23], s[0:1], 0x0
	s_load_dwordx2 s[14:15], s[0:1], 0x30
	s_lshr_b32 s1, s16, 4
	s_xor_b64 s[6:7], s[6:7], -1
	v_cndmask_b32_e64 v20, 0, 1, s[6:7]
	s_mul_i32 s6, s5, s1
	s_ashr_i32 s7, s6, 31
	s_lshl_b64 s[6:7], s[6:7], 2
	s_waitcnt lgkmcnt(0)
	s_add_u32 s6, s22, s6
	s_addc_u32 s7, s23, s7
	s_add_i32 s23, s16, 30
	v_lshl_add_u64 v[4:5], v[8:9], 2, s[6:7]
	s_mul_i32 s6, s5, s23
	s_add_i32 s23, s6, s2
	s_add_i32 s6, s16, 17
	s_mul_i32 s6, s5, s6
	s_add_i32 s37, s6, s2
	s_add_i32 s6, s16, 16
	;; [unrolled: 3-line block ×14, first 2 shown]
	s_mul_i32 s3, s3, s5
	s_mul_i32 s6, s5, s6
	s_lshl_b32 s3, s3, 7
	v_lshlrev_b32_e32 v0, 3, v0
	s_add_i32 s24, s16, 28
	s_add_i32 s25, s16, 29
	;; [unrolled: 1-line block ×16, first 2 shown]
	s_mov_b32 s19, 0x10001
	s_mov_b32 s0, s5
	v_and_b32_e32 v19, 24, v0
	s_ashr_i32 s1, s5, 31
	s_mul_i32 s7, s5, s24
	s_mul_i32 s25, s5, s25
	;; [unrolled: 1-line block ×12, first 2 shown]
	s_waitcnt vmcnt(1)
	v_lshrrev_b32_e32 v0, v0, v1
	s_mul_i32 s6, s5, s6
	s_mul_i32 s3, s5, s3
	s_mov_b32 s20, s5
	v_mov_b32_e32 v11, v8
	s_add_i32 s21, s17, s16
	s_lshl_b32 s22, s5, 5
	s_add_i32 s24, s7, s2
	s_add_i32 s25, s25, s2
	;; [unrolled: 1-line block ×12, first 2 shown]
	s_waitcnt vmcnt(0)
	v_mul_u32_u24_sdwa v24, v3, s19 dst_sel:DWORD dst_unused:UNUSED_PAD src0_sel:WORD_1 src1_sel:DWORD
	v_mul_u32_u24_sdwa v21, v3, s19 dst_sel:DWORD dst_unused:UNUSED_PAD src0_sel:WORD_0 src1_sel:DWORD
	v_mul_u32_u24_sdwa v22, v2, s19 dst_sel:DWORD dst_unused:UNUSED_PAD src0_sel:WORD_1 src1_sel:DWORD
	v_mul_u32_u24_sdwa v23, v2, s19 dst_sel:DWORD dst_unused:UNUSED_PAD src0_sel:WORD_0 src1_sel:DWORD
	v_bfe_u32 v25, v1, v19, 2
	v_bfe_u32 v26, v0, 2, 2
	;; [unrolled: 1-line block ×4, first 2 shown]
	s_add_i32 s51, s6, s2
	s_add_i32 s53, s3, s2
	s_lshl_b64 s[2:3], s[0:1], 2
	v_mov_b32_e32 v29, 0xe400e400
	s_movk_i32 s54, 0x3400
	s_movk_i32 s55, 0x2c00
	;; [unrolled: 1-line block ×3, first 2 shown]
	v_cndmask_b32_e64 v30, 0, 1, s[12:13]
	s_branch .LBB3_8
.LBB3_7:                                ;   in Loop: Header=BB3_8 Depth=1
	v_mul_lo_u32 v0, v3, s5
	v_add_u32_e32 v0, v0, v8
	s_add_i32 s16, s16, 32
	v_and_b32_e32 v2, 0xffff0000, v7
	v_and_b32_e32 v6, 0xffff0000, v6
	v_ashrrev_i32_e32 v1, 31, v0
	v_cmp_lt_i32_e32 vcc, s16, v17
	v_lshl_add_u64 v[0:1], v[0:1], 1, s[14:15]
	v_or_b32_sdwa v3, v2, v5 dst_sel:DWORD dst_unused:UNUSED_PAD src0_sel:DWORD src1_sel:WORD_1
	v_or_b32_sdwa v2, v6, v4 dst_sel:DWORD dst_unused:UNUSED_PAD src0_sel:DWORD src1_sel:WORD_1
	s_addk_i32 s4, 0x80
	s_add_i32 s23, s23, s22
	s_add_i32 s24, s24, s22
	;; [unrolled: 1-line block ×30, first 2 shown]
	v_lshl_add_u64 v[4:5], v[12:13], 0, s[2:3]
	global_store_dwordx2 v[0:1], v[2:3], off
	s_cbranch_vccz .LBB3_18
.LBB3_8:                                ; =>This Inner Loop Header: Depth=1
	s_cmp_lg_u32 s16, s21
	s_cbranch_scc1 .LBB3_10
; %bb.9:                                ;   in Loop: Header=BB3_8 Depth=1
	s_add_i32 s18, s18, 1
	s_mul_i32 s0, s18, s5
	s_ashr_i32 s1, s0, 31
	s_lshr_b32 s1, s1, 28
	s_add_i32 s1, s0, s1
	s_ashr_i32 s1, s1, 4
	v_add_u32_e32 v0, s1, v18
	v_add_u32_e32 v2, s0, v8
	v_ashrrev_i32_e32 v1, 31, v0
	v_ashrrev_i32_e32 v3, 31, v2
	v_lshl_add_u64 v[0:1], v[0:1], 2, s[8:9]
	v_lshl_add_u64 v[2:3], v[2:3], 1, s[10:11]
	global_load_dword v0, v[0:1], off
	s_add_i32 s21, s21, s17
	global_load_dwordx2 v[2:3], v[2:3], off
	s_waitcnt vmcnt(1)
	v_lshrrev_b32_e32 v1, v19, v0
	v_bfe_u32 v25, v0, v19, 2
	s_waitcnt vmcnt(0)
	v_mul_u32_u24_sdwa v23, v2, s19 dst_sel:DWORD dst_unused:UNUSED_PAD src0_sel:WORD_0 src1_sel:DWORD
	v_mul_u32_u24_sdwa v22, v2, s19 dst_sel:DWORD dst_unused:UNUSED_PAD src0_sel:WORD_1 src1_sel:DWORD
	v_mul_u32_u24_sdwa v21, v3, s19 dst_sel:DWORD dst_unused:UNUSED_PAD src0_sel:WORD_0 src1_sel:DWORD
	v_bfe_u32 v26, v1, 2, 2
	v_bfe_u32 v27, v1, 4, 2
	v_bfe_u32 v28, v1, 6, 2
	v_mul_u32_u24_sdwa v24, v3, s19 dst_sel:DWORD dst_unused:UNUSED_PAD src0_sel:WORD_1 src1_sel:DWORD
.LBB3_10:                               ;   in Loop: Header=BB3_8 Depth=1
	global_load_dwordx4 v[0:3], v[4:5], off
	v_add_u32_e32 v6, v25, v20
	v_add_u32_e32 v7, v26, v20
	v_cvt_f32_i32_e32 v12, v6
	v_cvt_f32_i32_e32 v13, v7
	v_add_u32_e32 v9, v27, v20
	v_add_u32_e32 v10, v28, v20
	v_and_b32_e32 v6, 0x1bff, v6
	v_and_b32_e32 v7, 0x1bff, v7
	v_cvt_f32_i32_e32 v14, v9
	v_cvt_f32_i32_e32 v15, v10
	v_mad_u32_u24 v37, v6, s19, v29
	v_mad_u32_u24 v36, v7, s19, v29
	v_cvt_f16_f32_e32 v6, v12
	v_cvt_f16_f32_e32 v7, v13
	v_and_b32_e32 v9, 0x1bff, v9
	v_and_b32_e32 v10, 0x1bff, v10
	v_mad_u32_u24 v32, v9, s19, v29
	v_mad_u32_u24 v31, v10, s19, v29
	v_cvt_f16_f32_e32 v9, v14
	v_cvt_f16_f32_e32 v10, v15
	v_sub_f16_e32 v12, 0xdc00, v6
	v_sub_f16_e32 v13, 0xd400, v6
	;; [unrolled: 1-line block ×5, first 2 shown]
	v_mul_u32_u24_e32 v44, 0x10001, v12
	v_mul_u32_u24_e32 v45, 0x10001, v13
	;; [unrolled: 1-line block ×5, first 2 shown]
	v_sub_f16_e32 v6, 0xcc00, v6
	v_mul_u32_u24_e32 v46, 0x10001, v6
	v_sub_f16_e32 v33, 0xdc00, v9
	v_sub_f16_e32 v34, 0xd400, v9
	;; [unrolled: 1-line block ×6, first 2 shown]
	v_mul_u32_u24_e32 v38, 0x10001, v33
	v_mul_u32_u24_e32 v39, 0x10001, v34
	;; [unrolled: 1-line block ×6, first 2 shown]
	v_cmp_ne_u32_e64 s[0:1], 1, v30
	s_andn2_b64 vcc, exec, s[12:13]
	s_waitcnt vmcnt(0)
	v_and_b32_e32 v7, 0xc000c, v0
	v_and_b32_e32 v12, 0x30003, v1
	;; [unrolled: 1-line block ×5, first 2 shown]
	v_lshrrev_b32_e32 v1, 8, v1
	v_or_b32_e32 v7, 0x64006400, v7
	v_and_b32_e32 v50, 0x30003, v1
	v_and_b32_e32 v51, 0xc000c, v1
	;; [unrolled: 1-line block ×3, first 2 shown]
	v_pk_fma_f16 v54, v7, s54, v44 op_sel_hi:[1,0,1]
	v_or_b32_e32 v7, 0x64006400, v50
	v_or_b32_e32 v50, 0x64006400, v51
	;; [unrolled: 1-line block ×3, first 2 shown]
	v_pk_fma_f16 v56, v51, s55, v42 op_sel_hi:[1,0,1]
	v_and_b32_e32 v51, 0xc000c, v2
	v_or_b32_e32 v52, 0x64006400, v51
	v_and_b32_e32 v51, 0x300030, v2
	v_pk_add_f16 v55, v36, v7
	v_and_b32_e32 v7, 0x30003, v2
	v_or_b32_e32 v57, 0x64006400, v51
	v_and_b32_e32 v51, 0xc000c0, v2
	v_lshrrev_b32_e32 v2, 8, v2
	v_or_b32_e32 v58, 0x64006400, v51
	v_and_b32_e32 v51, 0x30003, v2
	v_or_b32_e32 v59, 0x64006400, v51
	v_and_b32_e32 v51, 0xc000c, v2
	;; [unrolled: 2-line block ×3, first 2 shown]
	v_and_b32_e32 v6, 0x30003, v0
	v_or_b32_e32 v12, 0x64006400, v12
	v_or_b32_e32 v51, 0x64006400, v51
	;; [unrolled: 1-line block ×3, first 2 shown]
	v_pk_add_f16 v12, v36, v12
	v_or_b32_e32 v7, 0x64006400, v7
	v_pk_add_f16 v64, v31, v51
	v_pk_add_f16 v6, v37, v6
	;; [unrolled: 1-line block ×3, first 2 shown]
	v_pk_mul_f16 v66, v22, v12
	v_pk_mul_f16 v64, v24, v64
	v_pk_mul_f16 v51, v23, v6
	v_pk_mul_f16 v53, v21, v7
	v_lshlrev_b32_e32 v6, 16, v64
	v_lshlrev_b32_e32 v12, 16, v66
	v_or_b32_sdwa v7, v6, v53 dst_sel:DWORD dst_unused:UNUSED_PAD src0_sel:DWORD src1_sel:WORD_0
	v_or_b32_sdwa v6, v12, v51 dst_sel:DWORD dst_unused:UNUSED_PAD src0_sel:DWORD src1_sel:WORD_0
	v_and_b32_e32 v12, 0x300030, v2
	v_and_b32_e32 v9, 0x300030, v0
	;; [unrolled: 1-line block ×3, first 2 shown]
	v_lshrrev_b32_e32 v0, 8, v0
	v_and_b32_e32 v61, 0xc000c, v3
	v_and_b32_e32 v62, 0x300030, v3
	;; [unrolled: 1-line block ×3, first 2 shown]
	v_lshrrev_b32_e32 v3, 8, v3
	v_or_b32_e32 v12, 0x64006400, v12
	v_or_b32_e32 v9, 0x64006400, v9
	;; [unrolled: 1-line block ×3, first 2 shown]
	v_and_b32_e32 v47, 0x30003, v0
	v_and_b32_e32 v48, 0xc000c, v0
	;; [unrolled: 1-line block ×3, first 2 shown]
	v_or_b32_e32 v14, 0x64006400, v14
	v_or_b32_e32 v15, 0x64006400, v15
	v_and_b32_e32 v1, 0xc000c0, v1
	v_pk_add_f16 v67, v32, v59
	v_pk_fma_f16 v69, v12, s55, v39 op_sel_hi:[1,0,1]
	v_or_b32_e32 v12, 0x64006400, v61
	v_or_b32_e32 v59, 0x64006400, v62
	;; [unrolled: 1-line block ×3, first 2 shown]
	v_and_b32_e32 v62, 0x30003, v3
	v_and_b32_e32 v63, 0xc000c, v3
	;; [unrolled: 1-line block ×5, first 2 shown]
	v_or_b32_e32 v13, 0x64006400, v13
	v_or_b32_e32 v47, 0x64006400, v47
	;; [unrolled: 1-line block ×4, first 2 shown]
	v_pk_fma_f16 v9, v9, s55, v45 op_sel_hi:[1,0,1]
	v_pk_fma_f16 v10, v10, s56, v46 op_sel_hi:[1,0,1]
	v_or_b32_e32 v1, 0x64006400, v1
	v_pk_fma_f16 v14, v14, s55, v42 op_sel_hi:[1,0,1]
	v_pk_fma_f16 v15, v15, s56, v43 op_sel_hi:[1,0,1]
	v_and_b32_e32 v2, 0xc000c0, v2
	v_or_b32_e32 v62, 0x64006400, v62
	v_or_b32_e32 v63, 0x64006400, v63
	v_or_b32_e32 v65, 0x64006400, v65
	v_or_b32_e32 v3, 0x64006400, v3
	v_pk_fma_f16 v59, v59, s55, v34 op_sel_hi:[1,0,1]
	v_pk_fma_f16 v61, v61, s56, v35 op_sel_hi:[1,0,1]
	v_or_b32_e32 v0, 0x64006400, v0
	v_pk_add_f16 v47, v37, v47
	v_pk_fma_f16 v48, v48, s54, v44 op_sel_hi:[1,0,1]
	v_pk_fma_f16 v49, v49, s55, v45 op_sel_hi:[1,0,1]
	;; [unrolled: 1-line block ×5, first 2 shown]
	v_or_b32_e32 v2, 0x64006400, v2
	v_pk_fma_f16 v52, v52, s54, v38 op_sel_hi:[1,0,1]
	v_pk_fma_f16 v57, v57, s55, v39 op_sel_hi:[1,0,1]
	;; [unrolled: 1-line block ×5, first 2 shown]
	v_pk_add_f16 v70, v31, v62
	v_pk_fma_f16 v63, v63, s54, v33 op_sel_hi:[1,0,1]
	v_pk_fma_f16 v71, v65, s55, v34 op_sel_hi:[1,0,1]
	;; [unrolled: 1-line block ×3, first 2 shown]
	v_pk_mul_f16 v65, v23, v9
	v_pk_mul_f16 v9, v22, v14
	;; [unrolled: 1-line block ×6, first 2 shown]
	v_pk_fma_f16 v0, v0, s56, v46 op_sel_hi:[1,0,1]
	v_pk_fma_f16 v2, v2, s56, v40 op_sel_hi:[1,0,1]
	v_pk_mul_f16 v72, v23, v54
	v_pk_mul_f16 v54, v22, v13
	;; [unrolled: 1-line block ×16, first 2 shown]
	v_lshlrev_b32_e32 v79, 16, v14
	v_and_b32_e32 v77, 0xffff0000, v14
	v_lshlrev_b32_e32 v75, 16, v15
	v_and_b32_e32 v71, 0xffff0000, v15
	v_pk_mul_f16 v14, v22, v1
	v_pk_mul_f16 v15, v24, v3
	;; [unrolled: 1-line block ×4, first 2 shown]
	v_and_b32_e32 v85, 0xffff0000, v64
	v_and_b32_e32 v86, 0xffff0000, v66
	v_lshlrev_b32_e32 v83, 16, v73
	v_and_b32_e32 v81, 0xffff0000, v73
	v_lshlrev_b32_e32 v84, 16, v54
	;; [unrolled: 2-line block ×10, first 2 shown]
	v_and_b32_e32 v56, 0xffff0000, v49
	v_pk_mul_f16 v10, v23, v0
	v_pk_mul_f16 v9, v21, v2
	v_lshlrev_b32_e32 v49, 16, v15
	v_lshlrev_b32_e32 v50, 16, v14
	s_cbranch_vccnz .LBB3_15
; %bb.11:                               ;   in Loop: Header=BB3_8 Depth=1
	v_mov_b32_e32 v0, s4
	ds_read_b128 v[88:91], v0
	ds_read_b128 v[92:95], v0 offset:16
	ds_read_b128 v[96:99], v0 offset:32
	;; [unrolled: 1-line block ×3, first 2 shown]
	s_waitcnt lgkmcnt(3)
	v_mul_lo_u32 v87, v88, s20
	v_mul_lo_u32 v88, v89, s5
	v_add_u32_e32 v100, v87, v8
	v_add_u32_e32 v88, v88, v11
	v_ashrrev_i32_e32 v101, 31, v100
	v_lshl_add_u64 v[100:101], v[100:101], 1, s[14:15]
	v_ashrrev_i32_e32 v89, 31, v88
	global_store_dwordx2 v[100:101], v[6:7], off
	v_lshl_add_u64 v[88:89], v[88:89], 1, s[14:15]
	v_or_b32_sdwa v101, v85, v53 dst_sel:DWORD dst_unused:UNUSED_PAD src0_sel:DWORD src1_sel:WORD_1
	v_or_b32_sdwa v100, v86, v51 dst_sel:DWORD dst_unused:UNUSED_PAD src0_sel:DWORD src1_sel:WORD_1
	v_mul_lo_u32 v87, v90, s20
	global_store_dwordx2 v[88:89], v[100:101], off
	v_mul_lo_u32 v90, v91, s5
	v_add_u32_e32 v100, v87, v8
	v_add_u32_e32 v90, v90, v11
	v_ashrrev_i32_e32 v101, 31, v100
	v_or_b32_sdwa v89, v83, v74 dst_sel:DWORD dst_unused:UNUSED_PAD src0_sel:DWORD src1_sel:WORD_0
	v_or_b32_sdwa v88, v84, v72 dst_sel:DWORD dst_unused:UNUSED_PAD src0_sel:DWORD src1_sel:WORD_0
	v_lshl_add_u64 v[100:101], v[100:101], 1, s[14:15]
	v_ashrrev_i32_e32 v91, 31, v90
	global_store_dwordx2 v[100:101], v[88:89], off
	v_lshl_add_u64 v[88:89], v[90:91], 1, s[14:15]
	v_or_b32_sdwa v91, v81, v74 dst_sel:DWORD dst_unused:UNUSED_PAD src0_sel:DWORD src1_sel:WORD_1
	v_or_b32_sdwa v90, v82, v72 dst_sel:DWORD dst_unused:UNUSED_PAD src0_sel:DWORD src1_sel:WORD_1
	s_waitcnt lgkmcnt(2)
	v_mul_lo_u32 v87, v92, s20
	global_store_dwordx2 v[88:89], v[90:91], off
	v_mul_lo_u32 v90, v93, s5
	v_add_u32_e32 v92, v87, v8
	v_add_u32_e32 v90, v90, v11
	v_ashrrev_i32_e32 v93, 31, v92
	v_or_b32_sdwa v89, v79, v68 dst_sel:DWORD dst_unused:UNUSED_PAD src0_sel:DWORD src1_sel:WORD_0
	v_or_b32_sdwa v88, v80, v65 dst_sel:DWORD dst_unused:UNUSED_PAD src0_sel:DWORD src1_sel:WORD_0
	v_lshl_add_u64 v[92:93], v[92:93], 1, s[14:15]
	v_ashrrev_i32_e32 v91, 31, v90
	global_store_dwordx2 v[92:93], v[88:89], off
	v_lshl_add_u64 v[88:89], v[90:91], 1, s[14:15]
	v_or_b32_sdwa v91, v77, v68 dst_sel:DWORD dst_unused:UNUSED_PAD src0_sel:DWORD src1_sel:WORD_1
	v_or_b32_sdwa v90, v78, v65 dst_sel:DWORD dst_unused:UNUSED_PAD src0_sel:DWORD src1_sel:WORD_1
	v_mul_lo_u32 v87, v94, s20
	global_store_dwordx2 v[88:89], v[90:91], off
	v_mul_lo_u32 v90, v95, s5
	v_add_u32_e32 v92, v87, v8
	v_add_u32_e32 v90, v90, v11
	v_ashrrev_i32_e32 v93, 31, v92
	v_or_b32_sdwa v89, v75, v62 dst_sel:DWORD dst_unused:UNUSED_PAD src0_sel:DWORD src1_sel:WORD_0
	v_or_b32_sdwa v88, v76, v59 dst_sel:DWORD dst_unused:UNUSED_PAD src0_sel:DWORD src1_sel:WORD_0
	v_lshl_add_u64 v[92:93], v[92:93], 1, s[14:15]
	v_ashrrev_i32_e32 v91, 31, v90
	global_store_dwordx2 v[92:93], v[88:89], off
	v_lshl_add_u64 v[88:89], v[90:91], 1, s[14:15]
	v_or_b32_sdwa v91, v71, v62 dst_sel:DWORD dst_unused:UNUSED_PAD src0_sel:DWORD src1_sel:WORD_1
	v_or_b32_sdwa v90, v73, v59 dst_sel:DWORD dst_unused:UNUSED_PAD src0_sel:DWORD src1_sel:WORD_1
	s_waitcnt lgkmcnt(1)
	v_mul_lo_u32 v87, v96, s20
	global_store_dwordx2 v[88:89], v[90:91], off
	v_mul_lo_u32 v90, v97, s5
	v_add_u32_e32 v92, v87, v8
	v_add_u32_e32 v90, v90, v11
	v_ashrrev_i32_e32 v93, 31, v92
	v_or_b32_sdwa v89, v69, v55 dst_sel:DWORD dst_unused:UNUSED_PAD src0_sel:DWORD src1_sel:WORD_0
	v_or_b32_sdwa v88, v70, v52 dst_sel:DWORD dst_unused:UNUSED_PAD src0_sel:DWORD src1_sel:WORD_0
	;; [unrolled: 29-line block ×3, first 2 shown]
	v_lshl_add_u64 v[90:91], v[90:91], 1, s[14:15]
	v_ashrrev_i32_e32 v1, 31, v0
	global_store_dwordx2 v[90:91], v[88:89], off
	v_lshl_add_u64 v[0:1], v[0:1], 1, s[14:15]
	v_or_b32_sdwa v89, v54, v13 dst_sel:DWORD dst_unused:UNUSED_PAD src0_sel:DWORD src1_sel:WORD_1
	v_or_b32_sdwa v88, v56, v12 dst_sel:DWORD dst_unused:UNUSED_PAD src0_sel:DWORD src1_sel:WORD_1
	global_store_dwordx2 v[0:1], v[88:89], off
	v_mul_lo_u32 v0, v2, s5
	v_add_u32_e32 v0, v0, v8
	v_ashrrev_i32_e32 v1, 31, v0
	v_lshl_add_u64 v[0:1], v[0:1], 1, s[14:15]
	v_or_b32_sdwa v89, v49, v9 dst_sel:DWORD dst_unused:UNUSED_PAD src0_sel:DWORD src1_sel:WORD_0
	v_or_b32_sdwa v88, v50, v10 dst_sel:DWORD dst_unused:UNUSED_PAD src0_sel:DWORD src1_sel:WORD_0
	global_store_dwordx2 v[0:1], v[88:89], off
	s_cbranch_execnz .LBB3_13
.LBB3_12:                               ;   in Loop: Header=BB3_8 Depth=1
	v_add_u32_e32 v0, s52, v16
	v_ashrrev_i32_e32 v1, 31, v0
	v_lshl_add_u64 v[0:1], v[0:1], 1, s[14:15]
	global_store_dwordx2 v[0:1], v[6:7], off
	v_add_u32_e32 v0, s53, v16
	v_ashrrev_i32_e32 v1, 31, v0
	v_lshl_add_u64 v[0:1], v[0:1], 1, s[14:15]
	v_or_b32_sdwa v3, v85, v53 dst_sel:DWORD dst_unused:UNUSED_PAD src0_sel:DWORD src1_sel:WORD_1
	v_or_b32_sdwa v2, v86, v51 dst_sel:DWORD dst_unused:UNUSED_PAD src0_sel:DWORD src1_sel:WORD_1
	global_store_dwordx2 v[0:1], v[2:3], off
	v_add_u32_e32 v0, s50, v16
	v_ashrrev_i32_e32 v1, 31, v0
	v_lshl_add_u64 v[0:1], v[0:1], 1, s[14:15]
	v_or_b32_sdwa v3, v83, v74 dst_sel:DWORD dst_unused:UNUSED_PAD src0_sel:DWORD src1_sel:WORD_0
	v_or_b32_sdwa v2, v84, v72 dst_sel:DWORD dst_unused:UNUSED_PAD src0_sel:DWORD src1_sel:WORD_0
	global_store_dwordx2 v[0:1], v[2:3], off
	v_add_u32_e32 v0, s51, v16
	v_ashrrev_i32_e32 v1, 31, v0
	v_lshl_add_u64 v[0:1], v[0:1], 1, s[14:15]
	v_or_b32_sdwa v3, v81, v74 dst_sel:DWORD dst_unused:UNUSED_PAD src0_sel:DWORD src1_sel:WORD_1
	v_or_b32_sdwa v2, v82, v72 dst_sel:DWORD dst_unused:UNUSED_PAD src0_sel:DWORD src1_sel:WORD_1
	global_store_dwordx2 v[0:1], v[2:3], off
	v_add_u32_e32 v0, s48, v16
	v_ashrrev_i32_e32 v1, 31, v0
	v_lshl_add_u64 v[0:1], v[0:1], 1, s[14:15]
	v_or_b32_sdwa v3, v79, v68 dst_sel:DWORD dst_unused:UNUSED_PAD src0_sel:DWORD src1_sel:WORD_0
	v_or_b32_sdwa v2, v80, v65 dst_sel:DWORD dst_unused:UNUSED_PAD src0_sel:DWORD src1_sel:WORD_0
	;; [unrolled: 12-line block ×7, first 2 shown]
	s_add_i32 s6, s16, 15
	global_store_dwordx2 v[0:1], v[2:3], off
	v_mov_b32_e32 v3, s6
.LBB3_13:                               ;   in Loop: Header=BB3_8 Depth=1
	v_lshl_add_u64 v[12:13], v[4:5], 0, s[2:3]
	global_load_dwordx4 v[4:7], v[12:13], off
	v_mul_lo_u32 v0, v3, s5
	v_and_b32_e32 v1, 0xffff0000, v15
	v_add_u32_e32 v0, v0, v8
	v_and_b32_e32 v2, 0xffff0000, v14
	v_or_b32_sdwa v3, v1, v9 dst_sel:DWORD dst_unused:UNUSED_PAD src0_sel:DWORD src1_sel:WORD_1
	v_ashrrev_i32_e32 v1, 31, v0
	v_or_b32_sdwa v2, v2, v10 dst_sel:DWORD dst_unused:UNUSED_PAD src0_sel:DWORD src1_sel:WORD_1
	v_lshl_add_u64 v[0:1], v[0:1], 1, s[14:15]
	global_store_dwordx2 v[0:1], v[2:3], off
	s_and_b64 vcc, exec, s[0:1]
	s_waitcnt vmcnt(1)
	v_and_b32_e32 v0, 0x30003, v4
	v_and_b32_e32 v1, 0xc000c, v4
	v_and_b32_e32 v2, 0x300030, v4
	v_and_b32_e32 v3, 0xc000c0, v4
	v_lshrrev_b32_e32 v4, 8, v4
	v_and_b32_e32 v9, 0x30003, v5
	v_and_b32_e32 v10, 0xc000c, v5
	v_and_b32_e32 v14, 0x300030, v5
	v_and_b32_e32 v15, 0xc000c0, v5
	v_lshrrev_b32_e32 v5, 8, v5
	;; [unrolled: 5-line block ×3, first 2 shown]
	v_and_b32_e32 v51, 0x30003, v4
	v_and_b32_e32 v52, 0xc000c, v4
	;; [unrolled: 1-line block ×12, first 2 shown]
	v_or_b32_e32 v0, 0x64006400, v0
	v_or_b32_e32 v3, 0x64006400, v3
	;; [unrolled: 1-line block ×17, first 2 shown]
	v_pk_add_f16 v0, v37, v0
	v_pk_fma_f16 v3, v3, s56, v46 op_sel_hi:[1,0,1]
	v_or_b32_e32 v54, 0x64006400, v54
	v_pk_fma_f16 v10, v10, s54, v41 op_sel_hi:[1,0,1]
	v_pk_fma_f16 v14, v14, s55, v42 op_sel_hi:[1,0,1]
	;; [unrolled: 1-line block ×4, first 2 shown]
	v_pk_add_f16 v37, v37, v51
	v_pk_fma_f16 v4, v4, s56, v46 op_sel_hi:[1,0,1]
	v_pk_fma_f16 v46, v55, s54, v41 op_sel_hi:[1,0,1]
	;; [unrolled: 1-line block ×5, first 2 shown]
	v_and_b32_e32 v6, 0x30003, v7
	v_and_b32_e32 v41, 0xc000c, v7
	;; [unrolled: 1-line block ×4, first 2 shown]
	v_lshrrev_b32_e32 v7, 8, v7
	v_pk_fma_f16 v1, v1, s54, v44 op_sel_hi:[1,0,1]
	v_pk_fma_f16 v2, v2, s55, v45 op_sel_hi:[1,0,1]
	v_pk_add_f16 v9, v36, v9
	v_pk_fma_f16 v44, v52, s54, v44 op_sel_hi:[1,0,1]
	v_pk_fma_f16 v45, v53, s55, v45 op_sel_hi:[1,0,1]
	v_pk_add_f16 v36, v36, v54
	v_or_b32_e32 v6, 0x64006400, v6
	v_and_b32_e32 v52, 0x30003, v7
	v_and_b32_e32 v53, 0xc000c, v7
	;; [unrolled: 1-line block ×4, first 2 shown]
	v_or_b32_e32 v47, 0x64006400, v47
	v_or_b32_e32 v48, 0x64006400, v48
	;; [unrolled: 1-line block ×13, first 2 shown]
	v_pk_add_f16 v6, v31, v6
	v_pk_add_f16 v47, v32, v47
	v_pk_fma_f16 v48, v48, s54, v38 op_sel_hi:[1,0,1]
	v_pk_fma_f16 v49, v49, s55, v39 op_sel_hi:[1,0,1]
	v_pk_add_f16 v32, v32, v57
	v_pk_fma_f16 v38, v58, s54, v38 op_sel_hi:[1,0,1]
	v_pk_fma_f16 v39, v59, s55, v39 op_sel_hi:[1,0,1]
	;; [unrolled: 1-line block ×5, first 2 shown]
	v_pk_add_f16 v31, v31, v52
	v_pk_fma_f16 v33, v53, s54, v33 op_sel_hi:[1,0,1]
	v_pk_fma_f16 v34, v54, s55, v34 op_sel_hi:[1,0,1]
	;; [unrolled: 1-line block ×3, first 2 shown]
	v_pk_mul_f16 v59, v23, v0
	v_pk_mul_f16 v0, v22, v9
	;; [unrolled: 1-line block ×4, first 2 shown]
	v_lshlrev_b32_e32 v55, 16, v52
	v_lshlrev_b32_e32 v56, 16, v0
	v_pk_mul_f16 v53, v23, v1
	v_pk_mul_f16 v1, v22, v10
	;; [unrolled: 1-line block ×28, first 2 shown]
	v_or_b32_sdwa v15, v55, v60 dst_sel:DWORD dst_unused:UNUSED_PAD src0_sel:DWORD src1_sel:WORD_0
	v_or_b32_sdwa v14, v56, v59 dst_sel:DWORD dst_unused:UNUSED_PAD src0_sel:DWORD src1_sel:WORD_0
	v_and_b32_e32 v69, 0xffff0000, v52
	v_and_b32_e32 v70, 0xffff0000, v0
	v_lshlrev_b32_e32 v67, 16, v57
	v_lshlrev_b32_e32 v68, 16, v1
	v_and_b32_e32 v65, 0xffff0000, v57
	v_and_b32_e32 v66, 0xffff0000, v1
	v_lshlrev_b32_e32 v63, 16, v49
	v_lshlrev_b32_e32 v64, 16, v2
	v_and_b32_e32 v61, 0xffff0000, v49
	v_and_b32_e32 v62, 0xffff0000, v2
	v_lshlrev_b32_e32 v57, 16, v43
	v_lshlrev_b32_e32 v58, 16, v3
	v_and_b32_e32 v55, 0xffff0000, v43
	v_and_b32_e32 v56, 0xffff0000, v3
	v_lshlrev_b32_e32 v51, 16, v50
	v_lshlrev_b32_e32 v52, 16, v37
	v_and_b32_e32 v49, 0xffff0000, v50
	v_and_b32_e32 v50, 0xffff0000, v37
	v_lshlrev_b32_e32 v45, 16, v33
	v_lshlrev_b32_e32 v46, 16, v44
	v_and_b32_e32 v43, 0xffff0000, v33
	v_and_b32_e32 v44, 0xffff0000, v44
	v_lshlrev_b32_e32 v39, 16, v34
	v_lshlrev_b32_e32 v40, 16, v38
	v_and_b32_e32 v37, 0xffff0000, v34
	v_and_b32_e32 v38, 0xffff0000, v38
	v_lshlrev_b32_e32 v33, 16, v7
	v_lshlrev_b32_e32 v34, 16, v6
	s_cbranch_vccnz .LBB3_16
; %bb.14:                               ;   in Loop: Header=BB3_8 Depth=1
	v_mov_b32_e32 v0, s4
	ds_read_b128 v[72:75], v0 offset:64
	ds_read_b128 v[76:79], v0 offset:80
	;; [unrolled: 1-line block ×4, first 2 shown]
	s_waitcnt lgkmcnt(3)
	v_mul_lo_u32 v71, v72, s20
	v_mul_lo_u32 v72, v73, s5
	v_add_u32_e32 v84, v71, v8
	v_add_u32_e32 v72, v72, v11
	v_ashrrev_i32_e32 v85, 31, v84
	v_lshl_add_u64 v[84:85], v[84:85], 1, s[14:15]
	v_ashrrev_i32_e32 v73, 31, v72
	global_store_dwordx2 v[84:85], v[14:15], off
	v_lshl_add_u64 v[72:73], v[72:73], 1, s[14:15]
	v_or_b32_sdwa v85, v69, v60 dst_sel:DWORD dst_unused:UNUSED_PAD src0_sel:DWORD src1_sel:WORD_1
	v_or_b32_sdwa v84, v70, v59 dst_sel:DWORD dst_unused:UNUSED_PAD src0_sel:DWORD src1_sel:WORD_1
	v_mul_lo_u32 v71, v74, s20
	global_store_dwordx2 v[72:73], v[84:85], off
	v_mul_lo_u32 v74, v75, s5
	v_add_u32_e32 v84, v71, v8
	v_add_u32_e32 v74, v74, v11
	v_ashrrev_i32_e32 v85, 31, v84
	v_or_b32_sdwa v73, v67, v54 dst_sel:DWORD dst_unused:UNUSED_PAD src0_sel:DWORD src1_sel:WORD_0
	v_or_b32_sdwa v72, v68, v53 dst_sel:DWORD dst_unused:UNUSED_PAD src0_sel:DWORD src1_sel:WORD_0
	v_lshl_add_u64 v[84:85], v[84:85], 1, s[14:15]
	v_ashrrev_i32_e32 v75, 31, v74
	global_store_dwordx2 v[84:85], v[72:73], off
	v_lshl_add_u64 v[72:73], v[74:75], 1, s[14:15]
	v_or_b32_sdwa v75, v65, v54 dst_sel:DWORD dst_unused:UNUSED_PAD src0_sel:DWORD src1_sel:WORD_1
	v_or_b32_sdwa v74, v66, v53 dst_sel:DWORD dst_unused:UNUSED_PAD src0_sel:DWORD src1_sel:WORD_1
	s_waitcnt lgkmcnt(2)
	v_mul_lo_u32 v71, v76, s20
	global_store_dwordx2 v[72:73], v[74:75], off
	v_mul_lo_u32 v74, v77, s5
	v_add_u32_e32 v76, v71, v8
	v_add_u32_e32 v74, v74, v11
	v_ashrrev_i32_e32 v77, 31, v76
	v_or_b32_sdwa v73, v63, v48 dst_sel:DWORD dst_unused:UNUSED_PAD src0_sel:DWORD src1_sel:WORD_0
	v_or_b32_sdwa v72, v64, v47 dst_sel:DWORD dst_unused:UNUSED_PAD src0_sel:DWORD src1_sel:WORD_0
	v_lshl_add_u64 v[76:77], v[76:77], 1, s[14:15]
	v_ashrrev_i32_e32 v75, 31, v74
	global_store_dwordx2 v[76:77], v[72:73], off
	v_lshl_add_u64 v[72:73], v[74:75], 1, s[14:15]
	v_or_b32_sdwa v75, v61, v48 dst_sel:DWORD dst_unused:UNUSED_PAD src0_sel:DWORD src1_sel:WORD_1
	v_or_b32_sdwa v74, v62, v47 dst_sel:DWORD dst_unused:UNUSED_PAD src0_sel:DWORD src1_sel:WORD_1
	v_mul_lo_u32 v71, v78, s20
	global_store_dwordx2 v[72:73], v[74:75], off
	v_mul_lo_u32 v74, v79, s5
	v_add_u32_e32 v76, v71, v8
	v_add_u32_e32 v74, v74, v11
	v_ashrrev_i32_e32 v77, 31, v76
	v_or_b32_sdwa v73, v57, v42 dst_sel:DWORD dst_unused:UNUSED_PAD src0_sel:DWORD src1_sel:WORD_0
	v_or_b32_sdwa v72, v58, v41 dst_sel:DWORD dst_unused:UNUSED_PAD src0_sel:DWORD src1_sel:WORD_0
	v_lshl_add_u64 v[76:77], v[76:77], 1, s[14:15]
	v_ashrrev_i32_e32 v75, 31, v74
	global_store_dwordx2 v[76:77], v[72:73], off
	v_lshl_add_u64 v[72:73], v[74:75], 1, s[14:15]
	v_or_b32_sdwa v75, v55, v42 dst_sel:DWORD dst_unused:UNUSED_PAD src0_sel:DWORD src1_sel:WORD_1
	v_or_b32_sdwa v74, v56, v41 dst_sel:DWORD dst_unused:UNUSED_PAD src0_sel:DWORD src1_sel:WORD_1
	s_waitcnt lgkmcnt(1)
	v_mul_lo_u32 v71, v80, s20
	global_store_dwordx2 v[72:73], v[74:75], off
	v_mul_lo_u32 v74, v81, s5
	v_add_u32_e32 v76, v71, v8
	v_add_u32_e32 v74, v74, v11
	v_ashrrev_i32_e32 v77, 31, v76
	v_or_b32_sdwa v73, v51, v36 dst_sel:DWORD dst_unused:UNUSED_PAD src0_sel:DWORD src1_sel:WORD_0
	v_or_b32_sdwa v72, v52, v35 dst_sel:DWORD dst_unused:UNUSED_PAD src0_sel:DWORD src1_sel:WORD_0
	;; [unrolled: 29-line block ×3, first 2 shown]
	v_lshl_add_u64 v[74:75], v[74:75], 1, s[14:15]
	v_ashrrev_i32_e32 v1, 31, v0
	global_store_dwordx2 v[74:75], v[72:73], off
	v_lshl_add_u64 v[0:1], v[0:1], 1, s[14:15]
	v_or_b32_sdwa v73, v37, v10 dst_sel:DWORD dst_unused:UNUSED_PAD src0_sel:DWORD src1_sel:WORD_1
	v_or_b32_sdwa v72, v38, v9 dst_sel:DWORD dst_unused:UNUSED_PAD src0_sel:DWORD src1_sel:WORD_1
	global_store_dwordx2 v[0:1], v[72:73], off
	v_mul_lo_u32 v0, v2, s5
	v_add_u32_e32 v0, v0, v8
	v_ashrrev_i32_e32 v1, 31, v0
	v_lshl_add_u64 v[0:1], v[0:1], 1, s[14:15]
	v_or_b32_sdwa v73, v33, v5 dst_sel:DWORD dst_unused:UNUSED_PAD src0_sel:DWORD src1_sel:WORD_0
	v_or_b32_sdwa v72, v34, v4 dst_sel:DWORD dst_unused:UNUSED_PAD src0_sel:DWORD src1_sel:WORD_0
	global_store_dwordx2 v[0:1], v[72:73], off
	s_cbranch_execnz .LBB3_7
	s_branch .LBB3_17
.LBB3_15:                               ;   in Loop: Header=BB3_8 Depth=1
                                        ; implicit-def: $vgpr3
	s_branch .LBB3_12
.LBB3_16:                               ;   in Loop: Header=BB3_8 Depth=1
                                        ; implicit-def: $vgpr3
.LBB3_17:                               ;   in Loop: Header=BB3_8 Depth=1
	v_add_u32_e32 v0, s38, v16
	v_ashrrev_i32_e32 v1, 31, v0
	v_lshl_add_u64 v[0:1], v[0:1], 1, s[14:15]
	global_store_dwordx2 v[0:1], v[14:15], off
	v_add_u32_e32 v0, s37, v16
	v_ashrrev_i32_e32 v1, 31, v0
	v_lshl_add_u64 v[0:1], v[0:1], 1, s[14:15]
	v_or_b32_sdwa v3, v69, v60 dst_sel:DWORD dst_unused:UNUSED_PAD src0_sel:DWORD src1_sel:WORD_1
	v_or_b32_sdwa v2, v70, v59 dst_sel:DWORD dst_unused:UNUSED_PAD src0_sel:DWORD src1_sel:WORD_1
	global_store_dwordx2 v[0:1], v[2:3], off
	v_add_u32_e32 v0, s35, v16
	v_ashrrev_i32_e32 v1, 31, v0
	v_lshl_add_u64 v[0:1], v[0:1], 1, s[14:15]
	v_or_b32_sdwa v3, v67, v54 dst_sel:DWORD dst_unused:UNUSED_PAD src0_sel:DWORD src1_sel:WORD_0
	v_or_b32_sdwa v2, v68, v53 dst_sel:DWORD dst_unused:UNUSED_PAD src0_sel:DWORD src1_sel:WORD_0
	global_store_dwordx2 v[0:1], v[2:3], off
	v_add_u32_e32 v0, s36, v16
	v_ashrrev_i32_e32 v1, 31, v0
	v_lshl_add_u64 v[0:1], v[0:1], 1, s[14:15]
	v_or_b32_sdwa v3, v65, v54 dst_sel:DWORD dst_unused:UNUSED_PAD src0_sel:DWORD src1_sel:WORD_1
	v_or_b32_sdwa v2, v66, v53 dst_sel:DWORD dst_unused:UNUSED_PAD src0_sel:DWORD src1_sel:WORD_1
	global_store_dwordx2 v[0:1], v[2:3], off
	v_add_u32_e32 v0, s33, v16
	v_ashrrev_i32_e32 v1, 31, v0
	v_lshl_add_u64 v[0:1], v[0:1], 1, s[14:15]
	v_or_b32_sdwa v3, v63, v48 dst_sel:DWORD dst_unused:UNUSED_PAD src0_sel:DWORD src1_sel:WORD_0
	v_or_b32_sdwa v2, v64, v47 dst_sel:DWORD dst_unused:UNUSED_PAD src0_sel:DWORD src1_sel:WORD_0
	;; [unrolled: 12-line block ×7, first 2 shown]
	s_add_i32 s0, s16, 31
	global_store_dwordx2 v[0:1], v[2:3], off
	v_mov_b32_e32 v3, s0
	s_branch .LBB3_7
.LBB3_18:
	s_endpgm
	.section	.rodata,"a",@progbits
	.p2align	6, 0x0
	.amdhsa_kernel _ZN4vllm4gptq31reconstruct_exllama_2bit_kernelEPKjPKiS2_PK6__halfiiibPS5_
		.amdhsa_group_segment_fixed_size 512
		.amdhsa_private_segment_fixed_size 0
		.amdhsa_kernarg_size 56
		.amdhsa_user_sgpr_count 2
		.amdhsa_user_sgpr_dispatch_ptr 0
		.amdhsa_user_sgpr_queue_ptr 0
		.amdhsa_user_sgpr_kernarg_segment_ptr 1
		.amdhsa_user_sgpr_dispatch_id 0
		.amdhsa_user_sgpr_kernarg_preload_length 0
		.amdhsa_user_sgpr_kernarg_preload_offset 0
		.amdhsa_user_sgpr_private_segment_size 0
		.amdhsa_uses_dynamic_stack 0
		.amdhsa_enable_private_segment 0
		.amdhsa_system_sgpr_workgroup_id_x 1
		.amdhsa_system_sgpr_workgroup_id_y 1
		.amdhsa_system_sgpr_workgroup_id_z 0
		.amdhsa_system_sgpr_workgroup_info 0
		.amdhsa_system_vgpr_workitem_id 0
		.amdhsa_next_free_vgpr 102
		.amdhsa_next_free_sgpr 57
		.amdhsa_accum_offset 104
		.amdhsa_reserve_vcc 1
		.amdhsa_float_round_mode_32 0
		.amdhsa_float_round_mode_16_64 0
		.amdhsa_float_denorm_mode_32 3
		.amdhsa_float_denorm_mode_16_64 3
		.amdhsa_dx10_clamp 1
		.amdhsa_ieee_mode 1
		.amdhsa_fp16_overflow 0
		.amdhsa_tg_split 0
		.amdhsa_exception_fp_ieee_invalid_op 0
		.amdhsa_exception_fp_denorm_src 0
		.amdhsa_exception_fp_ieee_div_zero 0
		.amdhsa_exception_fp_ieee_overflow 0
		.amdhsa_exception_fp_ieee_underflow 0
		.amdhsa_exception_fp_ieee_inexact 0
		.amdhsa_exception_int_div_zero 0
	.end_amdhsa_kernel
	.text
.Lfunc_end3:
	.size	_ZN4vllm4gptq31reconstruct_exllama_2bit_kernelEPKjPKiS2_PK6__halfiiibPS5_, .Lfunc_end3-_ZN4vllm4gptq31reconstruct_exllama_2bit_kernelEPKjPKiS2_PK6__halfiiibPS5_
                                        ; -- End function
	.set _ZN4vllm4gptq31reconstruct_exllama_2bit_kernelEPKjPKiS2_PK6__halfiiibPS5_.num_vgpr, 102
	.set _ZN4vllm4gptq31reconstruct_exllama_2bit_kernelEPKjPKiS2_PK6__halfiiibPS5_.num_agpr, 0
	.set _ZN4vllm4gptq31reconstruct_exllama_2bit_kernelEPKjPKiS2_PK6__halfiiibPS5_.numbered_sgpr, 57
	.set _ZN4vllm4gptq31reconstruct_exllama_2bit_kernelEPKjPKiS2_PK6__halfiiibPS5_.num_named_barrier, 0
	.set _ZN4vllm4gptq31reconstruct_exllama_2bit_kernelEPKjPKiS2_PK6__halfiiibPS5_.private_seg_size, 0
	.set _ZN4vllm4gptq31reconstruct_exllama_2bit_kernelEPKjPKiS2_PK6__halfiiibPS5_.uses_vcc, 1
	.set _ZN4vllm4gptq31reconstruct_exllama_2bit_kernelEPKjPKiS2_PK6__halfiiibPS5_.uses_flat_scratch, 0
	.set _ZN4vllm4gptq31reconstruct_exllama_2bit_kernelEPKjPKiS2_PK6__halfiiibPS5_.has_dyn_sized_stack, 0
	.set _ZN4vllm4gptq31reconstruct_exllama_2bit_kernelEPKjPKiS2_PK6__halfiiibPS5_.has_recursion, 0
	.set _ZN4vllm4gptq31reconstruct_exllama_2bit_kernelEPKjPKiS2_PK6__halfiiibPS5_.has_indirect_call, 0
	.section	.AMDGPU.csdata,"",@progbits
; Kernel info:
; codeLenInByte = 7024
; TotalNumSgprs: 63
; NumVgprs: 102
; NumAgprs: 0
; TotalNumVgprs: 102
; ScratchSize: 0
; MemoryBound: 0
; FloatMode: 240
; IeeeMode: 1
; LDSByteSize: 512 bytes/workgroup (compile time only)
; SGPRBlocks: 7
; VGPRBlocks: 12
; NumSGPRsForWavesPerEU: 63
; NumVGPRsForWavesPerEU: 102
; AccumOffset: 104
; Occupancy: 4
; WaveLimiterHint : 0
; COMPUTE_PGM_RSRC2:SCRATCH_EN: 0
; COMPUTE_PGM_RSRC2:USER_SGPR: 2
; COMPUTE_PGM_RSRC2:TRAP_HANDLER: 0
; COMPUTE_PGM_RSRC2:TGID_X_EN: 1
; COMPUTE_PGM_RSRC2:TGID_Y_EN: 1
; COMPUTE_PGM_RSRC2:TGID_Z_EN: 0
; COMPUTE_PGM_RSRC2:TIDIG_COMP_CNT: 0
; COMPUTE_PGM_RSRC3_GFX90A:ACCUM_OFFSET: 25
; COMPUTE_PGM_RSRC3_GFX90A:TG_SPLIT: 0
	.text
	.protected	_ZN4vllm4gptq32gemm_half_q_half_alt_4bit_kernelEPK7__half2PKjP6__halfPKS6_S5_PKiiiib ; -- Begin function _ZN4vllm4gptq32gemm_half_q_half_alt_4bit_kernelEPK7__half2PKjP6__halfPKS6_S5_PKiiiib
	.globl	_ZN4vllm4gptq32gemm_half_q_half_alt_4bit_kernelEPK7__half2PKjP6__halfPKS6_S5_PKiiiib
	.p2align	8
	.type	_ZN4vllm4gptq32gemm_half_q_half_alt_4bit_kernelEPK7__half2PKjP6__halfPKS6_S5_PKiiiib,@function
_ZN4vllm4gptq32gemm_half_q_half_alt_4bit_kernelEPK7__half2PKjP6__halfPKS6_S5_PKiiiib: ; @_ZN4vllm4gptq32gemm_half_q_half_alt_4bit_kernelEPK7__half2PKjP6__halfPKS6_S5_PKiiiib
; %bb.0:
	s_load_dwordx4 s[16:19], s[2:3], 0x30
	s_load_dwordx2 s[20:21], s[2:3], 0x28
	s_load_dwordx8 s[8:15], s[2:3], 0x8
	s_lshl_b32 s26, s5, 3
	s_mov_b32 s22, 0
	s_waitcnt lgkmcnt(0)
	s_sub_i32 s7, s16, s26
	v_cvt_f64_u32_e32 v[2:3], s7
	s_lshl_b32 s7, s6, 4
	s_mov_b32 s23, 0x40200000
	s_and_b32 s28, s7, 0x1ffffff0
	v_min_f64 v[2:3], v[2:3], s[22:23]
	s_sub_i32 s7, s17, s28
	s_mov_b32 s22, 0
	v_cvt_i32_f64_e32 v1, v[2:3]
	v_cvt_f64_u32_e32 v[2:3], s7
	s_mov_b32 s23, 0x40300000
	v_min_f64 v[2:3], v[2:3], s[22:23]
	v_mul_f64 v[2:3], v[2:3], 4.0
	v_and_b32_e32 v11, 0x3ff, v0
	v_readfirstlane_b32 s16, v1
	v_cvt_i32_f64_e32 v1, v[2:3]
	v_cmp_lt_u32_e32 vcc, v11, v1
	v_readfirstlane_b32 s27, v1
	s_and_saveexec_b64 s[22:23], vcc
	s_cbranch_execz .LBB4_11
; %bb.1:
	s_cmp_lt_i32 s16, 1
	s_cbranch_scc1 .LBB4_11
; %bb.2:
	s_load_dwordx2 s[2:3], s[2:3], 0x0
	s_lshl_b32 s6, s6, 6
	s_lshl_b32 s29, s17, 2
	s_and_b32 s30, s6, 0x7fffffc0
	s_cmp_lt_u32 s16, 24
	s_cselect_b64 s[24:25], -1, 0
	s_and_b64 vcc, exec, s[24:25]
	s_cbranch_vccnz .LBB4_7
; %bb.3:
	s_add_i32 s24, s16, -1
	s_sub_i32 s25, 0, s29
	s_cmp_gt_i32 s29, -1
	s_cselect_b64 s[6:7], -1, 0
	v_add_u32_e32 v2, s30, v11
	s_mul_i32 s5, s5, s17
	v_cndmask_b32_e64 v3, 0, -1, s[6:7]
	s_and_b64 s[6:7], s[6:7], exec
	v_lshl_add_u32 v1, s5, 5, v2
	s_cselect_b32 s5, s29, s25
	s_mul_i32 s25, s5, s24
	s_mul_hi_u32 s5, s5, s24
	s_cmp_eq_u32 s5, 0
	v_xor_b32_e32 v1, v1, v3
	s_cselect_b64 s[6:7], -1, 0
	v_cmp_le_u32_e32 vcc, s25, v1
	s_mov_b32 s31, 0
	s_and_b64 s[34:35], vcc, s[6:7]
	s_mov_b64 s[24:25], -1
	v_mov_b32_e32 v3, 0
	s_and_saveexec_b64 s[6:7], s[34:35]
	s_cbranch_execz .LBB4_8
; %bb.4:
	s_and_b32 s5, s16, 0x7ffffffe
	v_mov_b32_e32 v3, 0x2000
	v_mov_b32_e32 v1, v2
	s_mov_b32 s24, s26
	s_mov_b32 s25, s29
	v_lshl_or_b32 v3, v11, 2, v3
	s_mov_b32 s33, 1
	v_mov_b32_e32 v5, 0
	s_mov_b32 s34, s5
.LBB4_5:                                ; =>This Inner Loop Header: Depth=1
	s_add_i32 s36, s31, s26
	s_add_i32 s35, s33, s24
	s_mul_i32 s36, s29, s36
	s_mul_i32 s35, s25, s35
	v_add_u32_e32 v4, s36, v2
	v_mov_b32_e32 v7, v5
	v_add_u32_e32 v6, s35, v1
	s_waitcnt lgkmcnt(0)
	v_lshl_add_u64 v[8:9], v[4:5], 2, s[2:3]
	v_lshl_add_u64 v[6:7], v[6:7], 2, s[2:3]
	global_load_dword v4, v[8:9], off
	global_load_dword v10, v[6:7], off
	s_add_i32 s31, s31, 2
	s_add_i32 s33, s33, 2
	s_add_i32 s34, s34, -2
	s_cmp_lg_u32 s34, 0
	s_waitcnt vmcnt(0)
	ds_write2st64_b32 v3, v4, v10 offset1:1
	v_add_u32_e32 v3, 0x200, v3
	s_cbranch_scc1 .LBB4_5
; %bb.6:
	s_cmp_lg_u32 s5, s16
	s_cselect_b64 s[24:25], -1, 0
	v_mov_b32_e32 v3, s5
	s_orn2_b64 s[24:25], s[24:25], exec
	s_or_b64 exec, exec, s[6:7]
	s_and_b64 exec, exec, s[24:25]
	s_cbranch_execnz .LBB4_9
	s_branch .LBB4_11
.LBB4_7:
	v_mov_b32_e32 v3, 0
	s_and_b64 exec, exec, s[24:25]
	s_cbranch_execnz .LBB4_9
	s_branch .LBB4_11
.LBB4_8:
	s_or_b64 exec, exec, s[6:7]
	s_and_b64 exec, exec, s[24:25]
	s_cbranch_execz .LBB4_11
.LBB4_9:
	v_add_u32_e32 v2, s26, v3
	v_mul_lo_u32 v2, s17, v2
	v_sub_u32_e32 v1, s16, v3
	v_lshlrev_b32_e32 v2, 2, v2
	v_lshlrev_b32_e32 v3, 8, v3
	v_lshlrev_b32_e32 v4, 2, v11
	s_movk_i32 s5, 0x2000
	v_add3_u32 v2, v11, v2, s30
	v_add3_u32 v4, v3, v4, s5
	s_mov_b64 s[6:7], 0
	v_mov_b32_e32 v3, 0
.LBB4_10:                               ; =>This Inner Loop Header: Depth=1
	s_waitcnt lgkmcnt(0)
	v_lshl_add_u64 v[6:7], v[2:3], 2, s[2:3]
	global_load_dword v5, v[6:7], off
	v_add_u32_e32 v1, -1, v1
	v_cmp_eq_u32_e32 vcc, 0, v1
	v_add_u32_e32 v2, s29, v2
	s_or_b64 s[6:7], vcc, s[6:7]
	s_waitcnt vmcnt(0)
	ds_write_b32 v4, v5
	v_add_u32_e32 v4, 0x100, v4
	s_andn2_b64 exec, exec, s[6:7]
	s_cbranch_execnz .LBB4_10
.LBB4_11:
	s_or_b64 exec, exec, s[22:23]
	v_bfe_u32 v1, v11, 3, 4
	v_cvt_f32_ubyte0_e32 v1, v1
	v_cvt_f16_f32_e32 v2, v1
	v_lshrrev_b32_e32 v1, 7, v11
	v_and_b32_e32 v6, 7, v11
	v_lshrrev_b32_e32 v4, 3, v11
	v_sub_u32_e32 v3, 16, v1
	v_and_b32_e32 v9, 30, v3
	v_add_u32_e32 v5, 16, v4
	v_lshlrev_b32_e32 v10, 5, v4
	v_lshlrev_b32_e32 v8, 2, v6
	v_mov_b32_e32 v1, v2
	v_or_b32_e32 v12, v10, v8
	s_waitcnt lgkmcnt(0)
	s_mov_b64 s[2:3], 0
	v_mov_b32_e32 v13, v9
	v_mov_b64_e32 v[6:7], v[4:5]
.LBB4_12:                               ; =>This Inner Loop Header: Depth=1
	v_lshrrev_b32_e32 v5, 4, v7
	v_lshrrev_b32_e32 v14, 4, v6
	v_cvt_f32_u32_e32 v5, v5
	v_cvt_f32_u32_e32 v14, v14
	v_add_u32_e32 v13, -2, v13
	v_cmp_eq_u32_e32 vcc, 0, v13
	v_cvt_f16_f32_sdwa v5, v5 dst_sel:WORD_1 dst_unused:UNUSED_PAD src0_sel:DWORD
	v_cvt_f16_f32_sdwa v14, v14 dst_sel:WORD_1 dst_unused:UNUSED_PAD src0_sel:DWORD
	v_add_u32_e32 v7, 32, v7
	v_add_u32_e32 v6, 32, v6
	v_or_b32_e32 v5, v5, v1
	v_or_b32_e32 v14, v14, v2
	s_or_b64 s[2:3], vcc, s[2:3]
	ds_write2st64_b32 v12, v14, v5 offset1:2
	v_add_u32_e32 v12, 0x400, v12
	s_andn2_b64 exec, exec, s[2:3]
	s_cbranch_execnz .LBB4_12
; %bb.13:
	s_or_b64 exec, exec, s[2:3]
	v_cmp_ne_u32_e32 vcc, v3, v9
	s_and_saveexec_b64 s[2:3], vcc
	s_cbranch_execz .LBB4_16
; %bb.14:
	v_lshlrev_b32_e32 v3, 9, v3
	v_lshl_add_u32 v4, v9, 4, v4
	v_and_b32_e32 v3, 0x3c00, v3
	v_add_u32_e32 v1, -16, v4
	v_lshrrev_b32_e32 v4, 4, v4
	v_add3_u32 v3, v3, v10, v8
	s_mov_b64 s[6:7], 0
	s_movk_i32 s5, 0xef
.LBB4_15:                               ; =>This Inner Loop Header: Depth=1
	v_cvt_f32_u32_e32 v5, v4
	v_add_u32_e32 v1, 16, v1
	v_cmp_lt_u32_e32 vcc, s5, v1
	v_add_u32_e32 v4, 1, v4
	v_cvt_f16_f32_sdwa v5, v5 dst_sel:WORD_1 dst_unused:UNUSED_PAD src0_sel:DWORD
	s_or_b64 s[6:7], vcc, s[6:7]
	v_or_b32_e32 v5, v5, v2
	ds_write_b32 v3, v5
	v_add_u32_e32 v3, 0x200, v3
	s_andn2_b64 exec, exec, s[6:7]
	s_cbranch_execnz .LBB4_15
.LBB4_16:
	s_or_b64 exec, exec, s[2:3]
	s_load_dwordx2 s[2:3], s[0:1], 0x4
	v_bfe_u32 v1, v0, 10, 10
	v_bfe_u32 v0, v0, 20, 10
	v_lshl_add_u32 v4, s4, 7, v11
	s_waitcnt lgkmcnt(0)
	s_lshr_b32 s0, s2, 16
	s_mul_i32 s0, s0, s3
	v_mul_lo_u32 v2, s0, v11
	v_mad_u32_u24 v1, v1, s3, v2
	v_add_lshl_u32 v5, v1, v0, 4
	v_mov_b32_e32 v1, 0
	v_add_u32_e32 v9, 0x2800, v5
	s_mov_b32 s2, 0
	v_mov_b32_e32 v0, v1
	v_mov_b32_e32 v2, v1
	;; [unrolled: 1-line block ×3, first 2 shown]
	s_cmp_lt_i32 s27, 1
	s_barrier
	ds_write_b128 v5, v[0:3] offset:10240
	s_cbranch_scc1 .LBB4_22
; %bb.17:
	s_ashr_i32 s0, s18, 31
	s_lshr_b32 s0, s0, 29
	s_add_i32 s0, s18, s0
	s_ashr_i32 s17, s0, 3
	s_and_b32 s0, s19, 1
	s_lshl_b32 s3, s28, 3
	s_add_i32 s19, s0, -1
	s_mul_i32 s0, s18, s28
	s_cmp_gt_i32 s16, 0
	v_lshlrev_b32_e32 v0, 2, v11
	v_add_u32_e32 v6, s0, v4
	s_cselect_b64 s[0:1], -1, 0
	v_and_b32_e32 v2, 28, v0
	v_cndmask_b32_e64 v0, 0, 1, s[0:1]
	v_lshrrev_b32_e32 v10, 3, v4
	s_mov_b32 s22, s19
	v_mov_b32_e32 v3, v2
	s_mov_b32 s23, s18
	v_mov_b32_e32 v5, v4
	s_ashr_i32 s24, s3, 31
	s_movk_i32 s25, 0x2000
	v_cmp_ne_u32_e64 s[0:1], 1, v0
	s_mov_b32 s28, 0x5040100
	s_branch .LBB4_19
.LBB4_18:                               ;   in Loop: Header=BB4_19 Depth=1
	s_add_i32 s2, s2, 4
	s_add_i32 s25, s25, 16
	s_cmp_ge_i32 s2, s27
	v_add_u32_e32 v6, s18, v6
	s_cbranch_scc1 .LBB4_22
.LBB4_19:                               ; =>This Loop Header: Depth=1
                                        ;     Child Loop BB4_21 Depth 2
	s_and_b64 vcc, exec, s[0:1]
	s_cbranch_vccnz .LBB4_18
; %bb.20:                               ;   in Loop: Header=BB4_19 Depth=1
	s_lshl_b32 s29, s2, 1
	s_ashr_i32 s5, s29, 31
	s_add_u32 s4, s29, s3
	s_addc_u32 s5, s5, s24
	s_lshl_b64 s[4:5], s[4:5], 2
	s_add_u32 s30, s20, s4
	s_addc_u32 s31, s21, s5
	s_load_dwordx2 s[34:35], s[30:31], 0x18
	s_load_dwordx4 s[4:7], s[30:31], 0x8
	v_mov_b32_e32 v13, v1
	v_ashrrev_i32_e32 v7, 31, v6
	s_waitcnt lgkmcnt(0)
	s_mul_i32 s30, s34, s18
	s_mul_i32 s31, s35, s23
	v_add_u32_e32 v12, s31, v5
	v_add_u32_e32 v0, s30, v4
	s_mul_i32 s33, s34, s17
	v_lshl_add_u64 v[14:15], v[0:1], 1, s[12:13]
	v_lshl_add_u64 v[12:13], v[12:13], 1, s[12:13]
	s_mul_i32 s30, s35, s17
	global_load_ushort v11, v[14:15], off
	global_load_ushort v17, v[12:13], off
	v_add_u32_e32 v14, s33, v10
	v_add_u32_e32 v12, s30, v10
	v_ashrrev_i32_e32 v15, 31, v14
	v_ashrrev_i32_e32 v13, 31, v12
	v_lshl_add_u64 v[14:15], v[14:15], 2, s[14:15]
	v_lshl_add_u64 v[12:13], v[12:13], 2, s[14:15]
	s_mul_i32 s30, s6, s18
	s_mul_i32 s31, s7, s23
	global_load_dword v16, v[14:15], off
	global_load_dword v18, v[12:13], off
	v_add_u32_e32 v12, s31, v5
	v_add_u32_e32 v0, s30, v4
	v_mov_b32_e32 v13, v1
	v_lshl_add_u64 v[14:15], v[0:1], 1, s[12:13]
	s_mul_i32 s6, s6, s17
	v_lshl_add_u64 v[12:13], v[12:13], 1, s[12:13]
	global_load_ushort v19, v[14:15], off
	global_load_ushort v21, v[12:13], off
	v_add_u32_e32 v14, s6, v10
	s_mul_i32 s6, s7, s17
	v_add_u32_e32 v12, s6, v10
	v_ashrrev_i32_e32 v15, 31, v14
	v_ashrrev_i32_e32 v13, 31, v12
	v_lshl_add_u64 v[14:15], v[14:15], 2, s[14:15]
	v_lshl_add_u64 v[12:13], v[12:13], 2, s[14:15]
	s_mul_i32 s6, s4, s18
	s_mul_i32 s7, s5, s23
	global_load_dword v20, v[14:15], off
	global_load_dword v22, v[12:13], off
	v_add_u32_e32 v12, s7, v5
	v_add_u32_e32 v0, s6, v4
	v_mov_b32_e32 v13, v1
	v_lshl_add_u64 v[14:15], v[0:1], 1, s[12:13]
	s_mul_i32 s4, s4, s17
	v_lshl_add_u64 v[12:13], v[12:13], 1, s[12:13]
	global_load_ushort v23, v[14:15], off
	global_load_ushort v26, v[12:13], off
	v_add_u32_e32 v14, s4, v10
	v_ashrrev_i32_e32 v15, 31, v14
	v_lshl_add_u64 v[14:15], v[14:15], 2, s[14:15]
	s_mul_i32 s4, s5, s17
	global_load_dword v24, v[14:15], off
	v_add_u32_e32 v14, s4, v10
	s_add_i32 s4, s29, s3
	s_ashr_i32 s5, s4, 31
	s_lshl_b64 s[4:5], s[4:5], 2
	s_add_u32 s4, s20, s4
	s_addc_u32 s5, s21, s5
	s_load_dwordx2 s[6:7], s[4:5], 0x0
	v_ashrrev_i32_e32 v15, 31, v14
	v_lshl_add_u64 v[14:15], v[14:15], 2, s[14:15]
	global_load_dword v25, v[14:15], off
	s_waitcnt lgkmcnt(0)
	s_mul_i32 s4, s6, s17
	v_add_u32_e32 v12, s4, v10
	s_mul_i32 s4, s7, s17
	v_add_u32_e32 v14, s4, v10
	v_ashrrev_i32_e32 v15, 31, v14
	v_ashrrev_i32_e32 v13, 31, v12
	v_lshl_add_u64 v[14:15], v[14:15], 2, s[14:15]
	v_lshl_add_u64 v[12:13], v[12:13], 2, s[14:15]
	global_load_dword v27, v[14:15], off
	global_load_dword v28, v[12:13], off
	s_mul_i32 s4, s6, s18
	s_mul_i32 s5, s7, s23
	v_add_u32_e32 v12, s5, v5
	v_add_u32_e32 v0, s4, v4
	v_mov_b32_e32 v13, v1
	v_lshl_add_u64 v[14:15], v[0:1], 1, s[12:13]
	v_lshl_add_u64 v[12:13], v[12:13], 1, s[12:13]
	global_load_ushort v0, v[14:15], off
	s_mov_b32 s4, s25
	global_load_ushort v14, v[12:13], off
	v_lshl_add_u64 v[12:13], v[6:7], 2, s[8:9]
	global_load_dword v7, v[12:13], off
	s_mov_b32 s5, s16
	s_waitcnt vmcnt(15)
	v_perm_b32 v15, v17, v11, s28
	s_waitcnt vmcnt(14)
	v_lshrrev_b32_e32 v13, v2, v16
	s_waitcnt vmcnt(13)
	v_lshrrev_b32_e32 v12, v3, v18
	v_and_b32_e32 v12, 15, v12
	v_and_b32_e32 v13, 15, v13
	v_sub_u32_e32 v13, s19, v13
	v_sub_u32_e32 v12, s22, v12
	v_cvt_f32_i32_e32 v12, v12
	v_cvt_f32_i32_e32 v13, v13
	v_cvt_f16_f32_e32 v12, v12
	v_cvt_f16_f32_e32 v13, v13
	v_pack_b32_f16 v12, v13, v12
	v_pk_mul_f16 v12, v15, v12
	s_waitcnt vmcnt(10)
	v_lshrrev_b32_e32 v18, v2, v20
	s_waitcnt vmcnt(9)
	v_lshrrev_b32_e32 v16, v3, v22
	v_and_b32_e32 v16, 15, v16
	v_and_b32_e32 v18, 15, v18
	v_sub_u32_e32 v18, s19, v18
	v_sub_u32_e32 v16, s22, v16
	v_cvt_f32_i32_e32 v16, v16
	v_cvt_f32_i32_e32 v18, v18
	v_cvt_f16_f32_e32 v13, v16
	v_cvt_f16_f32_e32 v15, v18
	v_lshlrev_b32_e32 v16, 16, v17
	v_or_b32_sdwa v16, v16, v11 dst_sel:DWORD dst_unused:UNUSED_PAD src0_sel:DWORD src1_sel:WORD_0
	s_waitcnt vmcnt(6)
	v_lshrrev_b32_e32 v17, v2, v24
	v_pack_b32_f16 v13, v15, v13
	v_and_b32_e32 v17, 15, v17
	v_sub_u32_e32 v17, s19, v17
	v_perm_b32 v11, v21, v19, s28
	v_cvt_f32_i32_e32 v17, v17
	v_pk_mul_f16 v11, v11, v13
	v_lshlrev_b32_e32 v13, 16, v21
	v_or_b32_sdwa v13, v13, v19 dst_sel:DWORD dst_unused:UNUSED_PAD src0_sel:DWORD src1_sel:WORD_0
	v_cvt_f16_f32_e32 v17, v17
	s_waitcnt vmcnt(5)
	v_lshrrev_b32_e32 v15, v3, v25
	v_and_b32_e32 v15, 15, v15
	v_sub_u32_e32 v15, s22, v15
	v_cvt_f32_i32_e32 v15, v15
	v_perm_b32 v18, v26, v23, s28
	v_cvt_f16_f32_e32 v15, v15
	s_waitcnt vmcnt(4)
	v_lshrrev_b32_e32 v19, v3, v27
	s_waitcnt vmcnt(3)
	v_lshrrev_b32_e32 v20, v2, v28
	v_and_b32_e32 v19, 15, v19
	v_and_b32_e32 v20, 15, v20
	v_sub_u32_e32 v20, s19, v20
	v_sub_u32_e32 v19, s22, v19
	v_cvt_f32_i32_e32 v19, v19
	v_cvt_f32_i32_e32 v20, v20
	v_pack_b32_f16 v15, v17, v15
	v_pk_mul_f16 v15, v18, v15
	v_cvt_f16_f32_e32 v17, v19
	v_cvt_f16_f32_e32 v18, v20
	s_waitcnt vmcnt(1)
	v_perm_b32 v20, v14, v0, s28
	s_waitcnt vmcnt(0)
	v_bfe_u32 v21, v7, 16, 8
	v_lshl_or_b32 v21, v21, 5, v8
	v_pack_b32_f16 v17, v18, v17
	v_pk_mul_f16 v17, v20, v17
	v_and_b32_e32 v18, 0xff, v7
	v_bfe_u32 v20, v7, 8, 8
	v_lshl_or_b32 v18, v18, 5, v8
	v_lshl_or_b32 v20, v20, 5, v8
	v_lshrrev_b32_e32 v7, 24, v7
	v_lshl_or_b32 v7, v7, 5, v8
	ds_read_b32 v18, v18
	ds_read_b32 v20, v20
	;; [unrolled: 1-line block ×4, first 2 shown]
	v_lshlrev_b32_e32 v19, 16, v26
	v_lshlrev_b32_e32 v14, 16, v14
	v_or_b32_sdwa v19, v19, v23 dst_sel:DWORD dst_unused:UNUSED_PAD src0_sel:DWORD src1_sel:WORD_0
	v_or_b32_sdwa v0, v14, v0 dst_sel:DWORD dst_unused:UNUSED_PAD src0_sel:DWORD src1_sel:WORD_0
	s_waitcnt lgkmcnt(3)
	v_pk_fma_f16 v0, v18, v0, v17
	s_waitcnt lgkmcnt(2)
	v_pk_fma_f16 v7, v20, v19, v15
	;; [unrolled: 2-line block ×4, first 2 shown]
	v_mov_b32_e32 v13, v9
.LBB4_21:                               ;   Parent Loop BB4_19 Depth=1
                                        ; =>  This Inner Loop Header: Depth=2
	v_mov_b32_e32 v14, s4
	ds_read_b128 v[14:17], v14
	ds_read_u16 v18, v13
	s_add_i32 s5, s5, -1
	s_addk_i32 s4, 0x100
	s_cmp_eq_u32 s5, 0
	s_waitcnt lgkmcnt(1)
	v_pk_fma_f16 v14, v0, v14, 0
	s_nop 0
	v_pk_fma_f16 v14, v7, v15, v14
	s_nop 0
	;; [unrolled: 2-line block ×4, first 2 shown]
	v_cvt_u16_f16_e32 v15, v14
	v_cvt_u16_f16_sdwa v14, v14 dst_sel:DWORD dst_unused:UNUSED_PAD src0_sel:WORD_1
	v_add_f16_e32 v14, v15, v14
	s_waitcnt lgkmcnt(0)
	v_add_f16_e32 v14, v18, v14
	ds_write_b16 v13, v14
	v_add_u32_e32 v13, 2, v13
	s_cbranch_scc0 .LBB4_21
	s_branch .LBB4_18
.LBB4_22:
	s_cmp_lt_i32 s16, 1
	s_cbranch_scc1 .LBB4_31
; %bb.23:
	s_mov_b32 s6, 0
	v_mov_b32_e32 v1, 0
	s_mov_b32 s7, 0xffff0000
	s_branch .LBB4_25
.LBB4_24:                               ;   in Loop: Header=BB4_25 Depth=1
	s_or_b64 exec, exec, s[4:5]
	s_add_i32 s6, s6, 1
	s_cmp_eq_u32 s6, s16
	s_cbranch_scc1 .LBB4_31
.LBB4_25:                               ; =>This Loop Header: Depth=1
                                        ;     Child Loop BB4_27 Depth 2
	s_add_i32 s0, s6, s26
	s_mul_i32 s0, s0, s18
	v_add_u32_e32 v0, s0, v4
	v_lshl_add_u64 v[2:3], v[0:1], 1, s[10:11]
	v_and_b32_e32 v0, 2, v2
	v_sub_co_u32_e32 v6, vcc, 0, v0
	v_lshl_add_u32 v5, s6, 1, v9
	s_nop 0
	v_subb_co_u32_e64 v7, s[0:1], 0, 0, vcc
	v_lshl_add_u64 v[2:3], v[2:3], 0, v[6:7]
	global_load_dword v7, v[2:3], off
	ds_read_u16 v5, v5
	s_mov_b64 s[4:5], 0
	v_cmp_eq_u64_e32 vcc, 0, v[0:1]
	v_cmp_ne_u32_e64 s[0:1], 0, v0
	s_branch .LBB4_27
.LBB4_26:                               ;   in Loop: Header=BB4_27 Depth=2
	s_or_b64 exec, exec, s[2:3]
	global_atomic_cmpswap v0, v[2:3], v[6:7], off sc0
	s_waitcnt vmcnt(0)
	v_cmp_eq_u32_e64 s[2:3], v7, v0
	s_or_b64 s[4:5], s[2:3], s[4:5]
	v_mov_b32_e32 v7, v0
	s_andn2_b64 exec, exec, s[4:5]
	s_cbranch_execz .LBB4_24
.LBB4_27:                               ;   Parent Loop BB4_25 Depth=1
                                        ; =>  This Inner Loop Header: Depth=2
	s_waitcnt vmcnt(0)
	v_cndmask_b32_sdwa v0, v7, v7, vcc dst_sel:DWORD dst_unused:UNUSED_PAD src0_sel:WORD_1 src1_sel:DWORD
	s_waitcnt lgkmcnt(0)
	v_add_f16_e32 v0, v5, v0
	s_and_saveexec_b64 s[2:3], s[0:1]
	s_xor_b64 s[2:3], exec, s[2:3]
; %bb.28:                               ;   in Loop: Header=BB4_27 Depth=2
	v_and_b32_e32 v6, 0xffff, v7
	v_lshl_or_b32 v6, v0, 16, v6
                                        ; implicit-def: $vgpr0
; %bb.29:                               ;   in Loop: Header=BB4_27 Depth=2
	s_andn2_saveexec_b64 s[2:3], s[2:3]
	s_cbranch_execz .LBB4_26
; %bb.30:                               ;   in Loop: Header=BB4_27 Depth=2
	v_and_or_b32 v6, v7, s7, v0
	s_branch .LBB4_26
.LBB4_31:
	s_endpgm
	.section	.rodata,"a",@progbits
	.p2align	6, 0x0
	.amdhsa_kernel _ZN4vllm4gptq32gemm_half_q_half_alt_4bit_kernelEPK7__half2PKjP6__halfPKS6_S5_PKiiiib
		.amdhsa_group_segment_fixed_size 26624
		.amdhsa_private_segment_fixed_size 0
		.amdhsa_kernarg_size 64
		.amdhsa_user_sgpr_count 4
		.amdhsa_user_sgpr_dispatch_ptr 1
		.amdhsa_user_sgpr_queue_ptr 0
		.amdhsa_user_sgpr_kernarg_segment_ptr 1
		.amdhsa_user_sgpr_dispatch_id 0
		.amdhsa_user_sgpr_kernarg_preload_length 0
		.amdhsa_user_sgpr_kernarg_preload_offset 0
		.amdhsa_user_sgpr_private_segment_size 0
		.amdhsa_uses_dynamic_stack 0
		.amdhsa_enable_private_segment 0
		.amdhsa_system_sgpr_workgroup_id_x 1
		.amdhsa_system_sgpr_workgroup_id_y 1
		.amdhsa_system_sgpr_workgroup_id_z 1
		.amdhsa_system_sgpr_workgroup_info 0
		.amdhsa_system_vgpr_workitem_id 2
		.amdhsa_next_free_vgpr 29
		.amdhsa_next_free_sgpr 37
		.amdhsa_accum_offset 32
		.amdhsa_reserve_vcc 1
		.amdhsa_float_round_mode_32 0
		.amdhsa_float_round_mode_16_64 0
		.amdhsa_float_denorm_mode_32 3
		.amdhsa_float_denorm_mode_16_64 3
		.amdhsa_dx10_clamp 1
		.amdhsa_ieee_mode 1
		.amdhsa_fp16_overflow 0
		.amdhsa_tg_split 0
		.amdhsa_exception_fp_ieee_invalid_op 0
		.amdhsa_exception_fp_denorm_src 0
		.amdhsa_exception_fp_ieee_div_zero 0
		.amdhsa_exception_fp_ieee_overflow 0
		.amdhsa_exception_fp_ieee_underflow 0
		.amdhsa_exception_fp_ieee_inexact 0
		.amdhsa_exception_int_div_zero 0
	.end_amdhsa_kernel
	.text
.Lfunc_end4:
	.size	_ZN4vllm4gptq32gemm_half_q_half_alt_4bit_kernelEPK7__half2PKjP6__halfPKS6_S5_PKiiiib, .Lfunc_end4-_ZN4vllm4gptq32gemm_half_q_half_alt_4bit_kernelEPK7__half2PKjP6__halfPKS6_S5_PKiiiib
                                        ; -- End function
	.set _ZN4vllm4gptq32gemm_half_q_half_alt_4bit_kernelEPK7__half2PKjP6__halfPKS6_S5_PKiiiib.num_vgpr, 29
	.set _ZN4vllm4gptq32gemm_half_q_half_alt_4bit_kernelEPK7__half2PKjP6__halfPKS6_S5_PKiiiib.num_agpr, 0
	.set _ZN4vllm4gptq32gemm_half_q_half_alt_4bit_kernelEPK7__half2PKjP6__halfPKS6_S5_PKiiiib.numbered_sgpr, 37
	.set _ZN4vllm4gptq32gemm_half_q_half_alt_4bit_kernelEPK7__half2PKjP6__halfPKS6_S5_PKiiiib.num_named_barrier, 0
	.set _ZN4vllm4gptq32gemm_half_q_half_alt_4bit_kernelEPK7__half2PKjP6__halfPKS6_S5_PKiiiib.private_seg_size, 0
	.set _ZN4vllm4gptq32gemm_half_q_half_alt_4bit_kernelEPK7__half2PKjP6__halfPKS6_S5_PKiiiib.uses_vcc, 1
	.set _ZN4vllm4gptq32gemm_half_q_half_alt_4bit_kernelEPK7__half2PKjP6__halfPKS6_S5_PKiiiib.uses_flat_scratch, 0
	.set _ZN4vllm4gptq32gemm_half_q_half_alt_4bit_kernelEPK7__half2PKjP6__halfPKS6_S5_PKiiiib.has_dyn_sized_stack, 0
	.set _ZN4vllm4gptq32gemm_half_q_half_alt_4bit_kernelEPK7__half2PKjP6__halfPKS6_S5_PKiiiib.has_recursion, 0
	.set _ZN4vllm4gptq32gemm_half_q_half_alt_4bit_kernelEPK7__half2PKjP6__halfPKS6_S5_PKiiiib.has_indirect_call, 0
	.section	.AMDGPU.csdata,"",@progbits
; Kernel info:
; codeLenInByte = 2556
; TotalNumSgprs: 43
; NumVgprs: 29
; NumAgprs: 0
; TotalNumVgprs: 29
; ScratchSize: 0
; MemoryBound: 0
; FloatMode: 240
; IeeeMode: 1
; LDSByteSize: 26624 bytes/workgroup (compile time only)
; SGPRBlocks: 5
; VGPRBlocks: 3
; NumSGPRsForWavesPerEU: 43
; NumVGPRsForWavesPerEU: 29
; AccumOffset: 32
; Occupancy: 8
; WaveLimiterHint : 1
; COMPUTE_PGM_RSRC2:SCRATCH_EN: 0
; COMPUTE_PGM_RSRC2:USER_SGPR: 4
; COMPUTE_PGM_RSRC2:TRAP_HANDLER: 0
; COMPUTE_PGM_RSRC2:TGID_X_EN: 1
; COMPUTE_PGM_RSRC2:TGID_Y_EN: 1
; COMPUTE_PGM_RSRC2:TGID_Z_EN: 1
; COMPUTE_PGM_RSRC2:TIDIG_COMP_CNT: 2
; COMPUTE_PGM_RSRC3_GFX90A:ACCUM_OFFSET: 7
; COMPUTE_PGM_RSRC3_GFX90A:TG_SPLIT: 0
	.text
	.protected	_ZN4vllm4gptq32gemm_half_q_half_alt_8bit_kernelEPK7__half2PKjP6__halfPKS6_S5_PKiiiib ; -- Begin function _ZN4vllm4gptq32gemm_half_q_half_alt_8bit_kernelEPK7__half2PKjP6__halfPKS6_S5_PKiiiib
	.globl	_ZN4vllm4gptq32gemm_half_q_half_alt_8bit_kernelEPK7__half2PKjP6__halfPKS6_S5_PKiiiib
	.p2align	8
	.type	_ZN4vllm4gptq32gemm_half_q_half_alt_8bit_kernelEPK7__half2PKjP6__halfPKS6_S5_PKiiiib,@function
_ZN4vllm4gptq32gemm_half_q_half_alt_8bit_kernelEPK7__half2PKjP6__halfPKS6_S5_PKiiiib: ; @_ZN4vllm4gptq32gemm_half_q_half_alt_8bit_kernelEPK7__half2PKjP6__halfPKS6_S5_PKiiiib
; %bb.0:
	s_load_dwordx4 s[8:11], s[2:3], 0x30
	s_lshl_b32 s18, s5, 3
	s_mov_b32 s12, 0
	s_mov_b32 s13, 0x40200000
	v_and_b32_e32 v6, 0x3ff, v0
	s_waitcnt lgkmcnt(0)
	s_sub_i32 s7, s8, s18
	v_cvt_f64_u32_e32 v[2:3], s7
	s_lshl_b32 s7, s6, 5
	s_and_b32 s21, s7, 0x3fffffe0
	v_min_f64 v[2:3], v[2:3], s[12:13]
	s_sub_i32 s7, s9, s21
	s_mov_b32 s12, 0
	v_cvt_i32_f64_e32 v1, v[2:3]
	v_cvt_f64_u32_e32 v[2:3], s7
	s_mov_b32 s13, 0x40400000
	v_min_f64 v[2:3], v[2:3], s[12:13]
	v_add_f64 v[2:3], v[2:3], v[2:3]
	v_readfirstlane_b32 s19, v1
	v_cvt_i32_f64_e32 v1, v[2:3]
	v_cmp_lt_u32_e32 vcc, v6, v1
	v_readfirstlane_b32 s20, v1
	s_and_saveexec_b64 s[12:13], vcc
	s_cbranch_execz .LBB5_11
; %bb.1:
	s_cmp_lt_i32 s19, 1
	s_cbranch_scc1 .LBB5_11
; %bb.2:
	s_load_dwordx2 s[14:15], s[2:3], 0x0
	s_lshl_b32 s6, s6, 6
	s_lshl_b32 s8, s9, 1
	s_and_b32 s22, s6, 0x7fffffc0
	s_cmp_lt_u32 s19, 24
	s_cselect_b64 s[16:17], -1, 0
	s_and_b64 vcc, exec, s[16:17]
	s_cbranch_vccnz .LBB5_7
; %bb.3:
	s_add_i32 s16, s19, -1
	s_sub_i32 s17, 0, s8
	s_cmp_gt_i32 s8, -1
	s_cselect_b64 s[6:7], -1, 0
	v_add_u32_e32 v2, s22, v6
	s_mul_i32 s5, s5, s9
	v_cndmask_b32_e64 v3, 0, -1, s[6:7]
	s_and_b64 s[6:7], s[6:7], exec
	v_lshl_add_u32 v1, s5, 4, v2
	s_cselect_b32 s5, s8, s17
	s_mul_i32 s17, s5, s16
	s_mul_hi_u32 s5, s5, s16
	s_cmp_eq_u32 s5, 0
	v_xor_b32_e32 v1, v1, v3
	s_cselect_b64 s[6:7], -1, 0
	v_cmp_le_u32_e32 vcc, s17, v1
	s_mov_b32 s23, 1
	s_mov_b32 s24, 0
	s_and_b64 s[26:27], vcc, s[6:7]
	s_mov_b64 s[16:17], -1
	v_mov_b32_e32 v1, 0
	s_and_saveexec_b64 s[6:7], s[26:27]
	s_cbranch_execz .LBB5_8
; %bb.4:
	s_and_b32 s5, s19, 0x7ffffffe
	v_lshlrev_b32_e32 v3, 2, v6
	v_mov_b32_e32 v1, v2
	s_mov_b32 s16, s18
	s_mov_b32 s17, s8
	v_mov_b32_e32 v5, 0
	s_mov_b32 s25, s5
.LBB5_5:                                ; =>This Inner Loop Header: Depth=1
	s_add_i32 s27, s24, s18
	s_add_i32 s26, s23, s16
	s_mul_i32 s27, s8, s27
	s_mul_i32 s26, s17, s26
	v_add_u32_e32 v4, s27, v2
	v_mov_b32_e32 v9, v5
	v_add_u32_e32 v8, s26, v1
	s_waitcnt lgkmcnt(0)
	v_lshl_add_u64 v[10:11], v[4:5], 2, s[14:15]
	v_lshl_add_u64 v[8:9], v[8:9], 2, s[14:15]
	global_load_dword v4, v[10:11], off
	global_load_dword v7, v[8:9], off
	s_add_i32 s24, s24, 2
	s_add_i32 s23, s23, 2
	s_add_i32 s25, s25, -2
	s_cmp_lg_u32 s25, 0
	s_waitcnt vmcnt(0)
	ds_write2st64_b32 v3, v4, v7 offset1:1
	v_add_u32_e32 v3, 0x200, v3
	s_cbranch_scc1 .LBB5_5
; %bb.6:
	s_cmp_lg_u32 s5, s19
	s_cselect_b64 s[16:17], -1, 0
	v_mov_b32_e32 v1, s5
	s_orn2_b64 s[16:17], s[16:17], exec
	s_or_b64 exec, exec, s[6:7]
	s_and_b64 exec, exec, s[16:17]
	s_cbranch_execnz .LBB5_9
	s_branch .LBB5_11
.LBB5_7:
	v_mov_b32_e32 v1, 0
	s_and_b64 exec, exec, s[16:17]
	s_cbranch_execnz .LBB5_9
	s_branch .LBB5_11
.LBB5_8:
	s_or_b64 exec, exec, s[6:7]
	s_and_b64 exec, exec, s[16:17]
	s_cbranch_execz .LBB5_11
.LBB5_9:
	v_add_u32_e32 v2, s18, v1
	v_mul_lo_u32 v2, s9, v2
	v_lshlrev_b32_e32 v2, 1, v2
	v_lshlrev_b32_e32 v3, 2, v6
	v_sub_u32_e32 v4, s19, v1
	v_add3_u32 v2, v6, v2, s22
	v_lshl_add_u32 v1, v1, 8, v3
	s_mov_b64 s[6:7], 0
	v_mov_b32_e32 v3, 0
.LBB5_10:                               ; =>This Inner Loop Header: Depth=1
	s_waitcnt lgkmcnt(0)
	v_lshl_add_u64 v[8:9], v[2:3], 2, s[14:15]
	global_load_dword v5, v[8:9], off
	v_add_u32_e32 v4, -1, v4
	v_cmp_eq_u32_e32 vcc, 0, v4
	v_add_u32_e32 v2, s8, v2
	s_or_b64 s[6:7], vcc, s[6:7]
	s_waitcnt vmcnt(0)
	ds_write_b32 v1, v5
	v_add_u32_e32 v1, 0x100, v1
	s_andn2_b64 exec, exec, s[6:7]
	s_cbranch_execnz .LBB5_10
.LBB5_11:
	s_or_b64 exec, exec, s[12:13]
	s_load_dwordx2 s[6:7], s[0:1], 0x4
	v_bfe_u32 v1, v0, 10, 10
	v_bfe_u32 v0, v0, 20, 10
	v_lshl_add_u32 v4, s4, 7, v6
	s_waitcnt lgkmcnt(0)
	s_mov_b32 s14, 0
	s_lshr_b32 s0, s6, 16
	s_mul_i32 s0, s0, s7
	v_mul_lo_u32 v2, s0, v6
	v_mad_u32_u24 v1, v1, s7, v2
	v_add_lshl_u32 v5, v1, v0, 4
	v_mov_b32_e32 v1, 0
	v_add_u32_e32 v8, 0x800, v5
	v_mov_b32_e32 v0, v1
	v_mov_b32_e32 v2, v1
	;; [unrolled: 1-line block ×3, first 2 shown]
	s_cmp_lt_i32 s20, 1
	s_barrier
	ds_write_b128 v5, v[0:3] offset:2048
	s_cbranch_scc1 .LBB5_17
; %bb.12:
	s_ashr_i32 s0, s10, 31
	s_lshr_b32 s0, s0, 30
	s_add_i32 s0, s10, s0
	s_load_dwordx2 s[8:9], s[2:3], 0x8
	s_load_dwordx4 s[4:7], s[2:3], 0x18
	s_load_dwordx2 s[12:13], s[2:3], 0x28
	s_ashr_i32 s16, s0, 2
	s_and_b32 s0, s11, 1
	s_lshl_b32 s15, s21, 2
	s_add_i32 s11, s0, -1
	s_mul_i32 s0, s10, s21
	s_cmp_gt_i32 s19, 0
	v_lshlrev_b32_e32 v0, 3, v6
	v_add_u32_e32 v6, s0, v4
	s_cselect_b64 s[0:1], -1, 0
	v_and_b32_e32 v2, 24, v0
	v_cndmask_b32_e64 v0, 0, 1, s[0:1]
	v_lshrrev_b32_e32 v9, 2, v4
	s_mov_b32 s17, s11
	v_mov_b32_e32 v3, v2
	s_mov_b32 s21, s10
	v_mov_b32_e32 v5, v4
	s_ashr_i32 s22, s15, 31
	s_mov_b32 s23, 0
	v_cmp_ne_u32_e64 s[0:1], 1, v0
	s_mov_b32 s24, 0x5040100
	s_branch .LBB5_14
.LBB5_13:                               ;   in Loop: Header=BB5_14 Depth=1
	s_add_i32 s23, s23, 2
	s_add_i32 s14, s14, 8
	s_cmp_ge_i32 s23, s20
	v_add_u32_e32 v6, s10, v6
	s_cbranch_scc1 .LBB5_17
.LBB5_14:                               ; =>This Loop Header: Depth=1
                                        ;     Child Loop BB5_16 Depth 2
	s_and_b64 vcc, exec, s[0:1]
	s_cbranch_vccnz .LBB5_13
; %bb.15:                               ;   in Loop: Header=BB5_14 Depth=1
	s_lshl_b32 s25, s23, 1
	s_ashr_i32 s27, s25, 31
	s_add_u32 s26, s25, s15
	s_addc_u32 s27, s27, s22
	s_lshl_b64 s[26:27], s[26:27], 2
	s_waitcnt lgkmcnt(0)
	s_add_u32 s26, s12, s26
	s_addc_u32 s27, s13, s27
	s_load_dwordx2 s[28:29], s[26:27], 0x8
	s_add_i32 s26, s25, s15
	s_ashr_i32 s27, s26, 31
	s_lshl_b64 s[26:27], s[26:27], 2
	s_add_u32 s26, s12, s26
	s_addc_u32 s27, s13, s27
	s_load_dwordx2 s[30:31], s[26:27], 0x0
	s_waitcnt lgkmcnt(0)
	s_mul_i32 s25, s28, s10
	s_mul_i32 s26, s29, s21
	v_add_u32_e32 v10, s26, v5
	v_add_u32_e32 v0, s25, v4
	v_mov_b32_e32 v11, v1
	v_lshl_add_u64 v[12:13], v[0:1], 1, s[4:5]
	s_mul_i32 s25, s28, s16
	v_lshl_add_u64 v[10:11], v[10:11], 1, s[4:5]
	global_load_ushort v14, v[12:13], off
	global_load_ushort v16, v[10:11], off
	v_add_u32_e32 v12, s25, v9
	s_mul_i32 s25, s29, s16
	v_add_u32_e32 v10, s25, v9
	v_ashrrev_i32_e32 v13, 31, v12
	v_ashrrev_i32_e32 v11, 31, v10
	v_lshl_add_u64 v[12:13], v[12:13], 2, s[6:7]
	v_lshl_add_u64 v[10:11], v[10:11], 2, s[6:7]
	v_ashrrev_i32_e32 v7, 31, v6
	global_load_dword v15, v[12:13], off
	global_load_dword v17, v[10:11], off
	s_mul_i32 s25, s30, s10
	v_lshl_add_u64 v[10:11], v[6:7], 2, s[8:9]
	s_mul_i32 s26, s31, s21
	global_load_dword v7, v[10:11], off
	v_add_u32_e32 v10, s26, v5
	v_add_u32_e32 v0, s25, v4
	v_mov_b32_e32 v11, v1
	v_lshl_add_u64 v[12:13], v[0:1], 1, s[4:5]
	s_mul_i32 s25, s30, s16
	v_lshl_add_u64 v[10:11], v[10:11], 1, s[4:5]
	global_load_ushort v18, v[12:13], off
	global_load_ushort v19, v[10:11], off
	v_add_u32_e32 v12, s25, v9
	s_mul_i32 s25, s31, s16
	v_add_u32_e32 v10, s25, v9
	v_ashrrev_i32_e32 v11, 31, v10
	v_ashrrev_i32_e32 v13, 31, v12
	v_lshl_add_u64 v[10:11], v[10:11], 2, s[6:7]
	v_lshl_add_u64 v[12:13], v[12:13], 2, s[6:7]
	global_load_dword v20, v[10:11], off
	global_load_dword v21, v[12:13], off
	s_mov_b32 s25, s14
	v_mov_b32_e32 v0, v8
	s_mov_b32 s26, s19
	s_waitcnt vmcnt(6)
	v_lshrrev_b32_e32 v15, v2, v15
	s_waitcnt vmcnt(5)
	v_lshrrev_b32_e32 v13, v3, v17
	v_sub_u32_sdwa v13, s17, v13 dst_sel:DWORD dst_unused:UNUSED_PAD src0_sel:DWORD src1_sel:BYTE_0
	v_cvt_f32_i32_e32 v13, v13
	s_waitcnt vmcnt(4)
	v_cvt_f32_ubyte0_e32 v10, v7
	v_cvt_f32_ubyte1_e32 v11, v7
	v_cvt_f32_ubyte2_e32 v12, v7
	v_cvt_f32_ubyte3_e32 v7, v7
	v_cvt_pk_f16_f32 v7, v12, v7
	v_lshlrev_b32_e32 v12, 16, v16
	v_cvt_pk_f16_f32 v10, v10, v11
	v_perm_b32 v11, v16, v14, s24
	v_or_b32_sdwa v12, v12, v14 dst_sel:DWORD dst_unused:UNUSED_PAD src0_sel:DWORD src1_sel:WORD_0
	v_sub_u32_sdwa v14, s11, v15 dst_sel:DWORD dst_unused:UNUSED_PAD src0_sel:DWORD src1_sel:BYTE_0
	v_cvt_f32_i32_e32 v14, v14
	s_waitcnt vmcnt(2)
	v_perm_b32 v15, v19, v18, s24
	v_lshlrev_b32_e32 v16, 16, v19
	v_cvt_f16_f32_e32 v13, v13
	v_cvt_f16_f32_e32 v14, v14
	s_waitcnt vmcnt(1)
	v_lshrrev_b32_e32 v17, v3, v20
	s_waitcnt vmcnt(0)
	v_lshrrev_b32_e32 v19, v2, v21
	v_sub_u32_sdwa v19, s11, v19 dst_sel:DWORD dst_unused:UNUSED_PAD src0_sel:DWORD src1_sel:BYTE_0
	v_sub_u32_sdwa v17, s17, v17 dst_sel:DWORD dst_unused:UNUSED_PAD src0_sel:DWORD src1_sel:BYTE_0
	v_cvt_f32_i32_e32 v17, v17
	v_cvt_f32_i32_e32 v19, v19
	v_or_b32_sdwa v16, v16, v18 dst_sel:DWORD dst_unused:UNUSED_PAD src0_sel:DWORD src1_sel:WORD_0
	v_pack_b32_f16 v13, v14, v13
	v_cvt_f16_f32_e32 v17, v17
	v_cvt_f16_f32_e32 v18, v19
	v_pk_mul_f16 v11, v11, v13
	s_nop 0
	v_pk_fma_f16 v7, v7, v12, v11
	v_pack_b32_f16 v11, v18, v17
	v_pk_mul_f16 v11, v15, v11
	s_nop 0
	v_pk_fma_f16 v10, v10, v16, v11
.LBB5_16:                               ;   Parent Loop BB5_14 Depth=1
                                        ; =>  This Inner Loop Header: Depth=2
	v_mov_b32_e32 v11, s25
	ds_read_b64 v[12:13], v11
	ds_read_u16 v14, v0
	s_add_i32 s26, s26, -1
	s_addk_i32 s25, 0x100
	s_cmp_eq_u32 s26, 0
	s_waitcnt lgkmcnt(1)
	v_pk_fma_f16 v11, v10, v12, 0
	s_nop 0
	v_pk_fma_f16 v11, v7, v13, v11
	s_nop 0
	v_cvt_u16_f16_e32 v12, v11
	v_cvt_u16_f16_sdwa v11, v11 dst_sel:DWORD dst_unused:UNUSED_PAD src0_sel:WORD_1
	v_add_f16_e32 v11, v12, v11
	s_waitcnt lgkmcnt(0)
	v_add_f16_e32 v11, v14, v11
	ds_write_b16 v0, v11
	v_add_u32_e32 v0, 2, v0
	s_cbranch_scc0 .LBB5_16
	s_branch .LBB5_13
.LBB5_17:
	s_cmp_lt_i32 s19, 1
	s_cbranch_scc1 .LBB5_26
; %bb.18:
	s_waitcnt lgkmcnt(0)
	s_load_dwordx2 s[4:5], s[2:3], 0x10
	s_mov_b32 s8, 0
	v_mov_b32_e32 v1, 0
	s_mov_b32 s9, 0xffff0000
	s_branch .LBB5_20
.LBB5_19:                               ;   in Loop: Header=BB5_20 Depth=1
	s_or_b64 exec, exec, s[6:7]
	s_add_i32 s8, s8, 1
	s_cmp_eq_u32 s8, s19
	s_cbranch_scc1 .LBB5_26
.LBB5_20:                               ; =>This Loop Header: Depth=1
                                        ;     Child Loop BB5_22 Depth 2
	s_add_i32 s0, s8, s18
	s_mul_i32 s0, s0, s10
	v_add_u32_e32 v0, s0, v4
	s_waitcnt lgkmcnt(0)
	v_lshl_add_u64 v[2:3], v[0:1], 1, s[4:5]
	v_and_b32_e32 v0, 2, v2
	v_sub_co_u32_e32 v6, vcc, 0, v0
	v_lshl_add_u32 v5, s8, 1, v8
	s_nop 0
	v_subb_co_u32_e64 v7, s[0:1], 0, 0, vcc
	v_lshl_add_u64 v[2:3], v[2:3], 0, v[6:7]
	global_load_dword v7, v[2:3], off
	ds_read_u16 v5, v5
	s_mov_b64 s[6:7], 0
	v_cmp_eq_u64_e32 vcc, 0, v[0:1]
	v_cmp_ne_u32_e64 s[0:1], 0, v0
	s_branch .LBB5_22
.LBB5_21:                               ;   in Loop: Header=BB5_22 Depth=2
	s_or_b64 exec, exec, s[2:3]
	global_atomic_cmpswap v0, v[2:3], v[6:7], off sc0
	s_waitcnt vmcnt(0)
	v_cmp_eq_u32_e64 s[2:3], v7, v0
	s_or_b64 s[6:7], s[2:3], s[6:7]
	v_mov_b32_e32 v7, v0
	s_andn2_b64 exec, exec, s[6:7]
	s_cbranch_execz .LBB5_19
.LBB5_22:                               ;   Parent Loop BB5_20 Depth=1
                                        ; =>  This Inner Loop Header: Depth=2
	s_waitcnt vmcnt(0)
	v_cndmask_b32_sdwa v0, v7, v7, vcc dst_sel:DWORD dst_unused:UNUSED_PAD src0_sel:WORD_1 src1_sel:DWORD
	s_waitcnt lgkmcnt(0)
	v_add_f16_e32 v0, v5, v0
	s_and_saveexec_b64 s[2:3], s[0:1]
	s_xor_b64 s[2:3], exec, s[2:3]
; %bb.23:                               ;   in Loop: Header=BB5_22 Depth=2
	v_and_b32_e32 v6, 0xffff, v7
	v_lshl_or_b32 v6, v0, 16, v6
                                        ; implicit-def: $vgpr0
; %bb.24:                               ;   in Loop: Header=BB5_22 Depth=2
	s_andn2_saveexec_b64 s[2:3], s[2:3]
	s_cbranch_execz .LBB5_21
; %bb.25:                               ;   in Loop: Header=BB5_22 Depth=2
	v_and_or_b32 v6, v7, s9, v0
	s_branch .LBB5_21
.LBB5_26:
	s_endpgm
	.section	.rodata,"a",@progbits
	.p2align	6, 0x0
	.amdhsa_kernel _ZN4vllm4gptq32gemm_half_q_half_alt_8bit_kernelEPK7__half2PKjP6__halfPKS6_S5_PKiiiib
		.amdhsa_group_segment_fixed_size 18432
		.amdhsa_private_segment_fixed_size 0
		.amdhsa_kernarg_size 64
		.amdhsa_user_sgpr_count 4
		.amdhsa_user_sgpr_dispatch_ptr 1
		.amdhsa_user_sgpr_queue_ptr 0
		.amdhsa_user_sgpr_kernarg_segment_ptr 1
		.amdhsa_user_sgpr_dispatch_id 0
		.amdhsa_user_sgpr_kernarg_preload_length 0
		.amdhsa_user_sgpr_kernarg_preload_offset 0
		.amdhsa_user_sgpr_private_segment_size 0
		.amdhsa_uses_dynamic_stack 0
		.amdhsa_enable_private_segment 0
		.amdhsa_system_sgpr_workgroup_id_x 1
		.amdhsa_system_sgpr_workgroup_id_y 1
		.amdhsa_system_sgpr_workgroup_id_z 1
		.amdhsa_system_sgpr_workgroup_info 0
		.amdhsa_system_vgpr_workitem_id 2
		.amdhsa_next_free_vgpr 22
		.amdhsa_next_free_sgpr 32
		.amdhsa_accum_offset 24
		.amdhsa_reserve_vcc 1
		.amdhsa_float_round_mode_32 0
		.amdhsa_float_round_mode_16_64 0
		.amdhsa_float_denorm_mode_32 3
		.amdhsa_float_denorm_mode_16_64 3
		.amdhsa_dx10_clamp 1
		.amdhsa_ieee_mode 1
		.amdhsa_fp16_overflow 0
		.amdhsa_tg_split 0
		.amdhsa_exception_fp_ieee_invalid_op 0
		.amdhsa_exception_fp_denorm_src 0
		.amdhsa_exception_fp_ieee_div_zero 0
		.amdhsa_exception_fp_ieee_overflow 0
		.amdhsa_exception_fp_ieee_underflow 0
		.amdhsa_exception_fp_ieee_inexact 0
		.amdhsa_exception_int_div_zero 0
	.end_amdhsa_kernel
	.text
.Lfunc_end5:
	.size	_ZN4vllm4gptq32gemm_half_q_half_alt_8bit_kernelEPK7__half2PKjP6__halfPKS6_S5_PKiiiib, .Lfunc_end5-_ZN4vllm4gptq32gemm_half_q_half_alt_8bit_kernelEPK7__half2PKjP6__halfPKS6_S5_PKiiiib
                                        ; -- End function
	.set _ZN4vllm4gptq32gemm_half_q_half_alt_8bit_kernelEPK7__half2PKjP6__halfPKS6_S5_PKiiiib.num_vgpr, 22
	.set _ZN4vllm4gptq32gemm_half_q_half_alt_8bit_kernelEPK7__half2PKjP6__halfPKS6_S5_PKiiiib.num_agpr, 0
	.set _ZN4vllm4gptq32gemm_half_q_half_alt_8bit_kernelEPK7__half2PKjP6__halfPKS6_S5_PKiiiib.numbered_sgpr, 32
	.set _ZN4vllm4gptq32gemm_half_q_half_alt_8bit_kernelEPK7__half2PKjP6__halfPKS6_S5_PKiiiib.num_named_barrier, 0
	.set _ZN4vllm4gptq32gemm_half_q_half_alt_8bit_kernelEPK7__half2PKjP6__halfPKS6_S5_PKiiiib.private_seg_size, 0
	.set _ZN4vllm4gptq32gemm_half_q_half_alt_8bit_kernelEPK7__half2PKjP6__halfPKS6_S5_PKiiiib.uses_vcc, 1
	.set _ZN4vllm4gptq32gemm_half_q_half_alt_8bit_kernelEPK7__half2PKjP6__halfPKS6_S5_PKiiiib.uses_flat_scratch, 0
	.set _ZN4vllm4gptq32gemm_half_q_half_alt_8bit_kernelEPK7__half2PKjP6__halfPKS6_S5_PKiiiib.has_dyn_sized_stack, 0
	.set _ZN4vllm4gptq32gemm_half_q_half_alt_8bit_kernelEPK7__half2PKjP6__halfPKS6_S5_PKiiiib.has_recursion, 0
	.set _ZN4vllm4gptq32gemm_half_q_half_alt_8bit_kernelEPK7__half2PKjP6__halfPKS6_S5_PKiiiib.has_indirect_call, 0
	.section	.AMDGPU.csdata,"",@progbits
; Kernel info:
; codeLenInByte = 1780
; TotalNumSgprs: 38
; NumVgprs: 22
; NumAgprs: 0
; TotalNumVgprs: 22
; ScratchSize: 0
; MemoryBound: 0
; FloatMode: 240
; IeeeMode: 1
; LDSByteSize: 18432 bytes/workgroup (compile time only)
; SGPRBlocks: 4
; VGPRBlocks: 2
; NumSGPRsForWavesPerEU: 38
; NumVGPRsForWavesPerEU: 22
; AccumOffset: 24
; Occupancy: 8
; WaveLimiterHint : 1
; COMPUTE_PGM_RSRC2:SCRATCH_EN: 0
; COMPUTE_PGM_RSRC2:USER_SGPR: 4
; COMPUTE_PGM_RSRC2:TRAP_HANDLER: 0
; COMPUTE_PGM_RSRC2:TGID_X_EN: 1
; COMPUTE_PGM_RSRC2:TGID_Y_EN: 1
; COMPUTE_PGM_RSRC2:TGID_Z_EN: 1
; COMPUTE_PGM_RSRC2:TIDIG_COMP_CNT: 2
; COMPUTE_PGM_RSRC3_GFX90A:ACCUM_OFFSET: 5
; COMPUTE_PGM_RSRC3_GFX90A:TG_SPLIT: 0
	.text
	.protected	_ZN4vllm4gptq28reconstruct_gptq_3bit_kernelEPKjPK6__halfS2_PKiiiibPS3_ ; -- Begin function _ZN4vllm4gptq28reconstruct_gptq_3bit_kernelEPKjPK6__halfS2_PKiiiibPS3_
	.globl	_ZN4vllm4gptq28reconstruct_gptq_3bit_kernelEPKjPK6__halfS2_PKiiiibPS3_
	.p2align	8
	.type	_ZN4vllm4gptq28reconstruct_gptq_3bit_kernelEPKjPK6__halfS2_PKiiiibPS3_,@function
_ZN4vllm4gptq28reconstruct_gptq_3bit_kernelEPKjPK6__halfS2_PKiiiibPS3_: ; @_ZN4vllm4gptq28reconstruct_gptq_3bit_kernelEPKjPK6__halfS2_PKiiiibPS3_
; %bb.0:
	s_load_dword s12, s[0:1], 0x24
	v_lshl_add_u32 v5, s2, 7, v0
	s_waitcnt lgkmcnt(0)
	v_cmp_gt_u32_e32 vcc, s12, v5
	s_and_saveexec_b64 s[4:5], vcc
	s_cbranch_execz .LBB6_175
; %bb.1:
	s_load_dwordx8 s[4:11], s[0:1], 0x0
	s_load_dwordx2 s[14:15], s[0:1], 0x30
	s_mul_i32 s26, s12, 3
	s_lshl_b32 s16, s3, 5
	s_mul_i32 s2, s26, s3
	s_mov_b32 s17, 0
	v_add_u32_e32 v2, s2, v5
	v_mov_b32_e32 v3, 0
	s_lshl_b64 s[2:3], s[16:17], 2
	s_waitcnt lgkmcnt(0)
	v_lshl_add_u64 v[6:7], v[2:3], 2, s[4:5]
	v_add_u32_e32 v2, s12, v2
	s_add_u32 s10, s10, s2
	v_lshl_add_u64 v[8:9], v[2:3], 2, s[4:5]
	v_add_u32_e32 v2, s12, v2
	s_addc_u32 s11, s11, s3
	v_lshl_add_u64 v[2:3], v[2:3], 2, s[4:5]
	global_load_dword v12, v[6:7], off
	global_load_dword v11, v[8:9], off
	;; [unrolled: 1-line block ×3, first 2 shown]
	s_load_dword s2, s[10:11], 0x0
	v_lshl_add_u32 v1, v5, 1, v5
	v_ashrrev_i32_e32 v2, 31, v1
	v_lshrrev_b32_e32 v2, 27, v2
	v_add_u32_e32 v1, v1, v2
	s_waitcnt lgkmcnt(0)
	s_mul_i32 s3, s2, s12
	s_mul_i32 s2, s26, s2
	v_add_u32_e32 v2, s3, v5
	s_ashr_i32 s3, s2, 31
	s_lshr_b32 s3, s3, 27
	v_ashrrev_i32_e32 v3, 31, v2
	s_add_i32 s2, s2, s3
	v_ashrrev_i32_e32 v9, 5, v1
	v_lshl_add_u64 v[2:3], v[2:3], 1, s[6:7]
	s_ashr_i32 s2, s2, 5
	global_load_ushort v13, v[2:3], off
	v_add_u32_e32 v2, s2, v9
	v_ashrrev_i32_e32 v3, 31, v2
	v_lshl_add_u64 v[2:3], v[2:3], 2, s[8:9]
	global_load_dword v1, v[2:3], off
	v_and_b32_e32 v10, 31, v0
	v_cmp_lt_u32_e64 s[4:5], 9, v10
	v_cmp_lt_u32_e32 vcc, 20, v10
	v_cmp_lt_i32_e64 s[2:3], 20, v10
	s_mov_b64 s[18:19], 0
	s_mov_b64 s[20:21], 0
                                        ; implicit-def: $vgpr0
	s_and_saveexec_b64 s[22:23], s[2:3]
	s_xor_b64 s[22:23], exec, s[22:23]
	s_cbranch_execz .LBB6_5
; %bb.2:
	v_cmp_eq_u32_e64 s[2:3], 21, v10
	s_mov_b64 s[20:21], -1
                                        ; implicit-def: $vgpr0
	s_and_saveexec_b64 s[24:25], s[2:3]
	s_cbranch_execz .LBB6_4
; %bb.3:
	global_load_dword v0, v[2:3], off offset:4
	s_xor_b64 s[20:21], exec, -1
	s_waitcnt vmcnt(0)
	v_alignbit_b32 v0, v0, v1, 31
	v_and_b32_e32 v0, 7, v0
.LBB6_4:
	s_or_b64 exec, exec, s[24:25]
	s_and_b64 s[20:21], s[20:21], exec
.LBB6_5:
	s_or_saveexec_b64 s[22:23], s[22:23]
	v_not_b32_e32 v6, 63
	v_not_b32_e32 v14, 31
	v_cmp_ne_u32_e64 s[2:3], 10, v10
	s_xor_b64 exec, exec, s[22:23]
; %bb.6:
	s_andn2_b64 s[20:21], s[20:21], exec
	s_and_b64 s[24:25], s[2:3], exec
	s_mov_b64 s[18:19], exec
	s_or_b64 s[20:21], s[20:21], s[24:25]
; %bb.7:
	s_or_b64 exec, exec, s[22:23]
	v_mul_u32_u24_e32 v7, 3, v10
	v_mad_u32_u24 v8, v10, 3, v6
	v_mad_u32_u24 v6, v10, 3, v14
	s_and_saveexec_b64 s[22:23], s[20:21]
	s_xor_b64 s[20:21], exec, s[22:23]
	s_cbranch_execz .LBB6_17
; %bb.8:
                                        ; implicit-def: $vgpr0
	s_and_saveexec_b64 s[22:23], s[4:5]
	s_xor_b64 s[22:23], exec, s[22:23]
	s_cbranch_execz .LBB6_14
; %bb.9:
                                        ; implicit-def: $vgpr0
	s_and_saveexec_b64 s[24:25], vcc
	s_xor_b64 s[24:25], exec, s[24:25]
	s_cbranch_execz .LBB6_11
; %bb.10:
	s_waitcnt vmcnt(0)
	v_bfe_u32 v0, v1, v8, 3
.LBB6_11:
	s_andn2_saveexec_b64 s[24:25], s[24:25]
	s_cbranch_execz .LBB6_13
; %bb.12:
	s_waitcnt vmcnt(0)
	v_bfe_u32 v0, v1, v6, 3
.LBB6_13:
	s_or_b64 exec, exec, s[24:25]
.LBB6_14:
	s_andn2_saveexec_b64 s[22:23], s[22:23]
	s_cbranch_execz .LBB6_16
; %bb.15:
	s_waitcnt vmcnt(0)
	v_bfe_u32 v0, v1, v7, 3
.LBB6_16:
	s_or_b64 exec, exec, s[22:23]
	s_andn2_b64 s[18:19], s[18:19], exec
.LBB6_17:
	s_or_b64 exec, exec, s[20:21]
	s_and_saveexec_b64 s[20:21], s[18:19]
	s_cbranch_execz .LBB6_19
; %bb.18:
	global_load_dword v0, v[2:3], off offset:4
	s_waitcnt vmcnt(0)
	v_alignbit_b32 v0, v0, v1, 30
	v_and_b32_e32 v0, 7, v0
.LBB6_19:
	s_or_b64 exec, exec, s[20:21]
	s_load_dword s0, s[0:1], 0x2c
	s_waitcnt vmcnt(0)
	v_and_b32_e32 v1, 7, v12
                                        ; implicit-def: $vgpr15
	s_waitcnt lgkmcnt(0)
	s_and_b32 s22, s0, 1
	s_add_i32 s22, s22, -1
	v_sub_u32_e32 v0, s22, v0
	v_add_u32_e32 v0, v0, v1
	v_cvt_f32_i32_e32 v0, v0
	s_mul_i32 s0, s12, s16
	s_mov_b64 s[16:17], 0
	v_cvt_f16_f32_e32 v2, v0
	v_add_u32_e32 v0, s0, v5
	s_load_dword s0, s[10:11], 0x4
	v_ashrrev_i32_e32 v1, 31, v0
	v_lshl_add_u64 v[0:1], v[0:1], 1, s[14:15]
	v_mul_f16_e32 v2, v13, v2
	global_store_short v[0:1], v2, off
	s_waitcnt lgkmcnt(0)
	s_mul_i32 s1, s0, s12
	s_mul_i32 s0, s26, s0
	v_add_u32_e32 v2, s1, v5
	s_ashr_i32 s1, s0, 31
	s_lshr_b32 s1, s1, 27
	v_ashrrev_i32_e32 v3, 31, v2
	s_add_i32 s0, s0, s1
	v_lshl_add_u64 v[2:3], v[2:3], 1, s[6:7]
	s_ashr_i32 s0, s0, 5
	global_load_ushort v13, v[2:3], off
	v_add_u32_e32 v2, s0, v9
	v_ashrrev_i32_e32 v3, 31, v2
	v_lshl_add_u64 v[2:3], v[2:3], 2, s[8:9]
	global_load_dword v14, v[2:3], off
	v_cmp_lt_i32_e64 s[0:1], 20, v10
	s_mov_b64 s[14:15], 0
	s_and_saveexec_b64 s[18:19], s[0:1]
	s_xor_b64 s[18:19], exec, s[18:19]
	s_cbranch_execnz .LBB6_176
; %bb.20:
	s_andn2_saveexec_b64 s[0:1], s[18:19]
	s_cbranch_execnz .LBB6_179
.LBB6_21:
	s_or_b64 exec, exec, s[0:1]
	s_and_saveexec_b64 s[0:1], s[16:17]
	s_xor_b64 s[0:1], exec, s[0:1]
	s_cbranch_execnz .LBB6_180
.LBB6_22:
	s_or_b64 exec, exec, s[0:1]
	s_and_saveexec_b64 s[0:1], s[14:15]
	s_cbranch_execz .LBB6_24
.LBB6_23:
	global_load_dword v2, v[2:3], off offset:4
	s_waitcnt vmcnt(0)
	v_alignbit_b32 v2, v2, v14, 30
	v_and_b32_e32 v15, 7, v2
.LBB6_24:
	s_or_b64 exec, exec, s[0:1]
	v_bfe_u32 v2, v12, 3, 3
	v_sub_u32_e32 v3, s22, v15
	v_add_u32_e32 v2, v3, v2
	v_cvt_f32_i32_e32 v2, v2
	s_load_dword s0, s[10:11], 0x8
	s_ashr_i32 s13, s12, 31
	v_lshl_add_u64 v[0:1], s[12:13], 1, v[0:1]
	v_cvt_f16_f32_e32 v2, v2
	s_mov_b64 s[14:15], 0
	s_waitcnt lgkmcnt(0)
	s_mul_i32 s1, s0, s12
	s_mul_i32 s0, s26, s0
	s_waitcnt vmcnt(1)
	v_mul_f16_e32 v2, v13, v2
	global_store_short v[0:1], v2, off
	v_add_u32_e32 v2, s1, v5
	s_ashr_i32 s1, s0, 31
	s_lshr_b32 s1, s1, 27
	v_ashrrev_i32_e32 v3, 31, v2
	s_add_i32 s0, s0, s1
	v_lshl_add_u64 v[2:3], v[2:3], 1, s[6:7]
	s_ashr_i32 s0, s0, 5
	global_load_ushort v13, v[2:3], off
	v_add_u32_e32 v2, s0, v9
	v_ashrrev_i32_e32 v3, 31, v2
	v_lshl_add_u64 v[2:3], v[2:3], 2, s[8:9]
	global_load_dword v14, v[2:3], off
	v_cmp_lt_i32_e64 s[0:1], 20, v10
	s_mov_b64 s[16:17], 0
                                        ; implicit-def: $vgpr15
	s_and_saveexec_b64 s[18:19], s[0:1]
	s_xor_b64 s[18:19], exec, s[18:19]
	s_cbranch_execnz .LBB6_189
; %bb.25:
	s_andn2_saveexec_b64 s[0:1], s[18:19]
	s_cbranch_execnz .LBB6_192
.LBB6_26:
	s_or_b64 exec, exec, s[0:1]
	s_and_saveexec_b64 s[0:1], s[16:17]
	s_xor_b64 s[0:1], exec, s[0:1]
	s_cbranch_execnz .LBB6_193
.LBB6_27:
	s_or_b64 exec, exec, s[0:1]
	s_and_saveexec_b64 s[0:1], s[14:15]
	s_cbranch_execz .LBB6_29
.LBB6_28:
	global_load_dword v2, v[2:3], off offset:4
	s_waitcnt vmcnt(0)
	v_alignbit_b32 v2, v2, v14, 30
	v_and_b32_e32 v15, 7, v2
.LBB6_29:
	s_or_b64 exec, exec, s[0:1]
	v_bfe_u32 v2, v12, 6, 3
	v_sub_u32_e32 v3, s22, v15
	v_add_u32_e32 v2, v3, v2
	v_cvt_f32_i32_e32 v2, v2
	s_load_dword s0, s[10:11], 0xc
	v_lshl_add_u64 v[0:1], s[12:13], 1, v[0:1]
	s_mov_b64 s[14:15], 0
	v_cvt_f16_f32_e32 v2, v2
	s_mov_b64 s[16:17], 0
	s_waitcnt lgkmcnt(0)
	s_mul_i32 s1, s0, s12
	s_mul_i32 s0, s26, s0
	s_waitcnt vmcnt(1)
	v_mul_f16_e32 v2, v13, v2
	global_store_short v[0:1], v2, off
	v_add_u32_e32 v2, s1, v5
	s_ashr_i32 s1, s0, 31
	s_lshr_b32 s1, s1, 27
	v_ashrrev_i32_e32 v3, 31, v2
	s_add_i32 s0, s0, s1
	v_lshl_add_u64 v[2:3], v[2:3], 1, s[6:7]
	s_ashr_i32 s0, s0, 5
	global_load_ushort v13, v[2:3], off
	v_add_u32_e32 v2, s0, v9
	v_ashrrev_i32_e32 v3, 31, v2
	v_lshl_add_u64 v[2:3], v[2:3], 2, s[8:9]
	global_load_dword v14, v[2:3], off
	v_cmp_lt_i32_e64 s[0:1], 20, v10
                                        ; implicit-def: $vgpr15
	s_and_saveexec_b64 s[18:19], s[0:1]
	s_xor_b64 s[18:19], exec, s[18:19]
	s_cbranch_execnz .LBB6_202
; %bb.30:
	s_andn2_saveexec_b64 s[0:1], s[18:19]
	s_cbranch_execnz .LBB6_205
.LBB6_31:
	s_or_b64 exec, exec, s[0:1]
	s_and_saveexec_b64 s[0:1], s[16:17]
	s_xor_b64 s[0:1], exec, s[0:1]
	s_cbranch_execnz .LBB6_206
.LBB6_32:
	s_or_b64 exec, exec, s[0:1]
	s_and_saveexec_b64 s[0:1], s[14:15]
	s_cbranch_execz .LBB6_34
.LBB6_33:
	global_load_dword v2, v[2:3], off offset:4
	s_waitcnt vmcnt(0)
	v_alignbit_b32 v2, v2, v14, 30
	v_and_b32_e32 v15, 7, v2
.LBB6_34:
	s_or_b64 exec, exec, s[0:1]
	v_bfe_u32 v2, v12, 9, 3
	v_sub_u32_e32 v3, s22, v15
	v_add_u32_e32 v2, v3, v2
	v_cvt_f32_i32_e32 v2, v2
	s_load_dword s0, s[10:11], 0x10
	v_lshl_add_u64 v[0:1], s[12:13], 1, v[0:1]
	s_mov_b64 s[14:15], 0
	v_cvt_f16_f32_e32 v2, v2
	s_mov_b64 s[16:17], 0
	s_waitcnt lgkmcnt(0)
	s_mul_i32 s1, s0, s12
	s_mul_i32 s0, s26, s0
	s_waitcnt vmcnt(1)
	v_mul_f16_e32 v2, v13, v2
	global_store_short v[0:1], v2, off
	v_add_u32_e32 v2, s1, v5
	s_ashr_i32 s1, s0, 31
	s_lshr_b32 s1, s1, 27
	v_ashrrev_i32_e32 v3, 31, v2
	s_add_i32 s0, s0, s1
	v_lshl_add_u64 v[2:3], v[2:3], 1, s[6:7]
	s_ashr_i32 s0, s0, 5
	global_load_ushort v13, v[2:3], off
	v_add_u32_e32 v2, s0, v9
	v_ashrrev_i32_e32 v3, 31, v2
	v_lshl_add_u64 v[2:3], v[2:3], 2, s[8:9]
	global_load_dword v14, v[2:3], off
	v_cmp_lt_i32_e64 s[0:1], 20, v10
                                        ; implicit-def: $vgpr15
	s_and_saveexec_b64 s[18:19], s[0:1]
	s_xor_b64 s[18:19], exec, s[18:19]
	s_cbranch_execnz .LBB6_215
; %bb.35:
	s_andn2_saveexec_b64 s[0:1], s[18:19]
	s_cbranch_execnz .LBB6_218
.LBB6_36:
	s_or_b64 exec, exec, s[0:1]
	s_and_saveexec_b64 s[0:1], s[16:17]
	s_xor_b64 s[0:1], exec, s[0:1]
	s_cbranch_execnz .LBB6_219
.LBB6_37:
	s_or_b64 exec, exec, s[0:1]
	s_and_saveexec_b64 s[0:1], s[14:15]
	s_cbranch_execz .LBB6_39
.LBB6_38:
	global_load_dword v2, v[2:3], off offset:4
	s_waitcnt vmcnt(0)
	v_alignbit_b32 v2, v2, v14, 30
	v_and_b32_e32 v15, 7, v2
.LBB6_39:
	s_or_b64 exec, exec, s[0:1]
	v_bfe_u32 v2, v12, 12, 3
	v_sub_u32_e32 v3, s22, v15
	v_add_u32_e32 v2, v3, v2
	v_cvt_f32_i32_e32 v2, v2
	s_load_dword s0, s[10:11], 0x14
	v_lshl_add_u64 v[0:1], s[12:13], 1, v[0:1]
	s_mov_b64 s[14:15], 0
	v_cvt_f16_f32_e32 v2, v2
	s_mov_b64 s[16:17], 0
	s_waitcnt lgkmcnt(0)
	s_mul_i32 s1, s0, s12
	s_mul_i32 s0, s26, s0
	s_waitcnt vmcnt(1)
	v_mul_f16_e32 v2, v13, v2
	global_store_short v[0:1], v2, off
	v_add_u32_e32 v2, s1, v5
	s_ashr_i32 s1, s0, 31
	s_lshr_b32 s1, s1, 27
	v_ashrrev_i32_e32 v3, 31, v2
	s_add_i32 s0, s0, s1
	v_lshl_add_u64 v[2:3], v[2:3], 1, s[6:7]
	s_ashr_i32 s0, s0, 5
	global_load_ushort v13, v[2:3], off
	v_add_u32_e32 v2, s0, v9
	v_ashrrev_i32_e32 v3, 31, v2
	v_lshl_add_u64 v[2:3], v[2:3], 2, s[8:9]
	global_load_dword v14, v[2:3], off
	v_cmp_lt_i32_e64 s[0:1], 20, v10
                                        ; implicit-def: $vgpr15
	s_and_saveexec_b64 s[18:19], s[0:1]
	s_xor_b64 s[18:19], exec, s[18:19]
	s_cbranch_execnz .LBB6_228
; %bb.40:
	s_andn2_saveexec_b64 s[0:1], s[18:19]
	s_cbranch_execnz .LBB6_231
.LBB6_41:
	s_or_b64 exec, exec, s[0:1]
	s_and_saveexec_b64 s[0:1], s[16:17]
	s_xor_b64 s[0:1], exec, s[0:1]
	s_cbranch_execnz .LBB6_232
.LBB6_42:
	s_or_b64 exec, exec, s[0:1]
	s_and_saveexec_b64 s[0:1], s[14:15]
	s_cbranch_execz .LBB6_44
.LBB6_43:
	global_load_dword v2, v[2:3], off offset:4
	s_waitcnt vmcnt(0)
	v_alignbit_b32 v2, v2, v14, 30
	v_and_b32_e32 v15, 7, v2
.LBB6_44:
	s_or_b64 exec, exec, s[0:1]
	v_bfe_u32 v2, v12, 15, 3
	v_sub_u32_e32 v3, s22, v15
	v_add_u32_e32 v2, v3, v2
	v_cvt_f32_i32_e32 v2, v2
	s_load_dword s0, s[10:11], 0x18
	v_lshl_add_u64 v[0:1], s[12:13], 1, v[0:1]
	s_mov_b64 s[14:15], 0
	v_cvt_f16_f32_e32 v2, v2
	s_mov_b64 s[16:17], 0
	s_waitcnt lgkmcnt(0)
	s_mul_i32 s1, s0, s12
	s_mul_i32 s0, s26, s0
	s_waitcnt vmcnt(1)
	v_mul_f16_e32 v2, v13, v2
	global_store_short v[0:1], v2, off
	v_add_u32_e32 v2, s1, v5
	s_ashr_i32 s1, s0, 31
	s_lshr_b32 s1, s1, 27
	v_ashrrev_i32_e32 v3, 31, v2
	s_add_i32 s0, s0, s1
	v_lshl_add_u64 v[2:3], v[2:3], 1, s[6:7]
	s_ashr_i32 s0, s0, 5
	global_load_ushort v13, v[2:3], off
	v_add_u32_e32 v2, s0, v9
	v_ashrrev_i32_e32 v3, 31, v2
	v_lshl_add_u64 v[2:3], v[2:3], 2, s[8:9]
	global_load_dword v14, v[2:3], off
	v_cmp_lt_i32_e64 s[0:1], 20, v10
                                        ; implicit-def: $vgpr15
	s_and_saveexec_b64 s[18:19], s[0:1]
	s_xor_b64 s[18:19], exec, s[18:19]
	s_cbranch_execnz .LBB6_241
; %bb.45:
	s_andn2_saveexec_b64 s[0:1], s[18:19]
	s_cbranch_execnz .LBB6_244
.LBB6_46:
	s_or_b64 exec, exec, s[0:1]
	s_and_saveexec_b64 s[0:1], s[16:17]
	s_xor_b64 s[0:1], exec, s[0:1]
	s_cbranch_execnz .LBB6_245
.LBB6_47:
	s_or_b64 exec, exec, s[0:1]
	s_and_saveexec_b64 s[0:1], s[14:15]
	s_cbranch_execz .LBB6_49
.LBB6_48:
	global_load_dword v2, v[2:3], off offset:4
	s_waitcnt vmcnt(0)
	v_alignbit_b32 v2, v2, v14, 30
	v_and_b32_e32 v15, 7, v2
.LBB6_49:
	s_or_b64 exec, exec, s[0:1]
	v_bfe_u32 v2, v12, 18, 3
	v_sub_u32_e32 v3, s22, v15
	v_add_u32_e32 v2, v3, v2
	v_cvt_f32_i32_e32 v2, v2
	s_load_dword s0, s[10:11], 0x1c
	v_lshl_add_u64 v[0:1], s[12:13], 1, v[0:1]
	s_mov_b64 s[14:15], 0
	v_cvt_f16_f32_e32 v2, v2
	s_mov_b64 s[16:17], 0
	s_waitcnt lgkmcnt(0)
	s_mul_i32 s1, s0, s12
	s_mul_i32 s0, s26, s0
	s_waitcnt vmcnt(1)
	v_mul_f16_e32 v2, v13, v2
	global_store_short v[0:1], v2, off
	v_add_u32_e32 v2, s1, v5
	s_ashr_i32 s1, s0, 31
	s_lshr_b32 s1, s1, 27
	v_ashrrev_i32_e32 v3, 31, v2
	s_add_i32 s0, s0, s1
	v_lshl_add_u64 v[2:3], v[2:3], 1, s[6:7]
	s_ashr_i32 s0, s0, 5
	global_load_ushort v13, v[2:3], off
	v_add_u32_e32 v2, s0, v9
	v_ashrrev_i32_e32 v3, 31, v2
	v_lshl_add_u64 v[2:3], v[2:3], 2, s[8:9]
	global_load_dword v14, v[2:3], off
	v_cmp_lt_i32_e64 s[0:1], 20, v10
                                        ; implicit-def: $vgpr15
	s_and_saveexec_b64 s[18:19], s[0:1]
	s_xor_b64 s[18:19], exec, s[18:19]
	s_cbranch_execnz .LBB6_254
; %bb.50:
	s_andn2_saveexec_b64 s[0:1], s[18:19]
	s_cbranch_execnz .LBB6_257
.LBB6_51:
	s_or_b64 exec, exec, s[0:1]
	s_and_saveexec_b64 s[0:1], s[16:17]
	s_xor_b64 s[0:1], exec, s[0:1]
	s_cbranch_execnz .LBB6_258
.LBB6_52:
	s_or_b64 exec, exec, s[0:1]
	s_and_saveexec_b64 s[0:1], s[14:15]
	s_cbranch_execz .LBB6_54
.LBB6_53:
	global_load_dword v2, v[2:3], off offset:4
	s_waitcnt vmcnt(0)
	v_alignbit_b32 v2, v2, v14, 30
	v_and_b32_e32 v15, 7, v2
.LBB6_54:
	s_or_b64 exec, exec, s[0:1]
	v_bfe_u32 v2, v12, 21, 3
	v_sub_u32_e32 v3, s22, v15
	v_add_u32_e32 v2, v3, v2
	v_cvt_f32_i32_e32 v2, v2
	s_load_dword s0, s[10:11], 0x20
	v_lshl_add_u64 v[0:1], s[12:13], 1, v[0:1]
	s_mov_b64 s[14:15], 0
	v_cvt_f16_f32_e32 v2, v2
	s_mov_b64 s[16:17], 0
	s_waitcnt lgkmcnt(0)
	s_mul_i32 s1, s0, s12
	s_mul_i32 s0, s26, s0
	s_waitcnt vmcnt(1)
	v_mul_f16_e32 v2, v13, v2
	global_store_short v[0:1], v2, off
	v_add_u32_e32 v2, s1, v5
	s_ashr_i32 s1, s0, 31
	s_lshr_b32 s1, s1, 27
	v_ashrrev_i32_e32 v3, 31, v2
	s_add_i32 s0, s0, s1
	v_lshl_add_u64 v[2:3], v[2:3], 1, s[6:7]
	s_ashr_i32 s0, s0, 5
	global_load_ushort v13, v[2:3], off
	v_add_u32_e32 v2, s0, v9
	v_ashrrev_i32_e32 v3, 31, v2
	v_lshl_add_u64 v[2:3], v[2:3], 2, s[8:9]
	global_load_dword v14, v[2:3], off
	v_cmp_lt_i32_e64 s[0:1], 20, v10
                                        ; implicit-def: $vgpr15
	s_and_saveexec_b64 s[18:19], s[0:1]
	s_xor_b64 s[18:19], exec, s[18:19]
	s_cbranch_execnz .LBB6_267
; %bb.55:
	s_andn2_saveexec_b64 s[0:1], s[18:19]
	s_cbranch_execnz .LBB6_270
.LBB6_56:
	s_or_b64 exec, exec, s[0:1]
	s_and_saveexec_b64 s[0:1], s[16:17]
	s_xor_b64 s[0:1], exec, s[0:1]
	s_cbranch_execnz .LBB6_271
.LBB6_57:
	s_or_b64 exec, exec, s[0:1]
	s_and_saveexec_b64 s[0:1], s[14:15]
	s_cbranch_execz .LBB6_59
.LBB6_58:
	global_load_dword v2, v[2:3], off offset:4
	s_waitcnt vmcnt(0)
	v_alignbit_b32 v2, v2, v14, 30
	v_and_b32_e32 v15, 7, v2
.LBB6_59:
	s_or_b64 exec, exec, s[0:1]
	v_bfe_u32 v2, v12, 24, 3
	v_sub_u32_e32 v3, s22, v15
	v_add_u32_e32 v2, v3, v2
	v_cvt_f32_i32_e32 v2, v2
	s_load_dword s0, s[10:11], 0x24
	v_lshl_add_u64 v[0:1], s[12:13], 1, v[0:1]
	s_mov_b64 s[14:15], 0
	v_cvt_f16_f32_e32 v2, v2
	s_mov_b64 s[16:17], 0
	s_waitcnt lgkmcnt(0)
	s_mul_i32 s1, s0, s12
	s_mul_i32 s0, s26, s0
	s_waitcnt vmcnt(1)
	v_mul_f16_e32 v2, v13, v2
	global_store_short v[0:1], v2, off
	v_add_u32_e32 v2, s1, v5
	s_ashr_i32 s1, s0, 31
	s_lshr_b32 s1, s1, 27
	v_ashrrev_i32_e32 v3, 31, v2
	s_add_i32 s0, s0, s1
	v_lshl_add_u64 v[2:3], v[2:3], 1, s[6:7]
	s_ashr_i32 s0, s0, 5
	global_load_ushort v13, v[2:3], off
	v_add_u32_e32 v2, s0, v9
	v_ashrrev_i32_e32 v3, 31, v2
	v_lshl_add_u64 v[2:3], v[2:3], 2, s[8:9]
	global_load_dword v14, v[2:3], off
	v_cmp_lt_i32_e64 s[0:1], 20, v10
                                        ; implicit-def: $vgpr15
	s_and_saveexec_b64 s[18:19], s[0:1]
	s_xor_b64 s[18:19], exec, s[18:19]
	s_cbranch_execnz .LBB6_280
; %bb.60:
	s_andn2_saveexec_b64 s[0:1], s[18:19]
	s_cbranch_execnz .LBB6_283
.LBB6_61:
	s_or_b64 exec, exec, s[0:1]
	s_and_saveexec_b64 s[0:1], s[16:17]
	s_xor_b64 s[0:1], exec, s[0:1]
	s_cbranch_execnz .LBB6_284
.LBB6_62:
	s_or_b64 exec, exec, s[0:1]
	s_and_saveexec_b64 s[0:1], s[14:15]
	s_cbranch_execz .LBB6_64
.LBB6_63:
	global_load_dword v2, v[2:3], off offset:4
	s_waitcnt vmcnt(0)
	v_alignbit_b32 v2, v2, v14, 30
	v_and_b32_e32 v15, 7, v2
.LBB6_64:
	s_or_b64 exec, exec, s[0:1]
	v_bfe_u32 v2, v12, 27, 3
	v_sub_u32_e32 v3, s22, v15
	v_add_u32_e32 v2, v3, v2
	v_cvt_f32_i32_e32 v2, v2
	s_load_dword s0, s[10:11], 0x28
	v_lshl_add_u64 v[0:1], s[12:13], 1, v[0:1]
	s_mov_b64 s[14:15], 0
	v_cvt_f16_f32_e32 v2, v2
	s_mov_b64 s[16:17], 0
	s_waitcnt lgkmcnt(0)
	s_mul_i32 s1, s0, s12
	s_mul_i32 s0, s26, s0
	s_waitcnt vmcnt(1)
	v_mul_f16_e32 v2, v13, v2
	global_store_short v[0:1], v2, off
	v_add_u32_e32 v2, s1, v5
	s_ashr_i32 s1, s0, 31
	s_lshr_b32 s1, s1, 27
	v_ashrrev_i32_e32 v3, 31, v2
	s_add_i32 s0, s0, s1
	v_lshl_add_u64 v[2:3], v[2:3], 1, s[6:7]
	s_ashr_i32 s0, s0, 5
	global_load_ushort v13, v[2:3], off
	v_add_u32_e32 v2, s0, v9
	v_ashrrev_i32_e32 v3, 31, v2
	v_lshl_add_u64 v[2:3], v[2:3], 2, s[8:9]
	global_load_dword v14, v[2:3], off
	v_cmp_lt_i32_e64 s[0:1], 20, v10
                                        ; implicit-def: $vgpr15
	s_and_saveexec_b64 s[18:19], s[0:1]
	s_xor_b64 s[18:19], exec, s[18:19]
	s_cbranch_execnz .LBB6_293
; %bb.65:
	s_andn2_saveexec_b64 s[0:1], s[18:19]
	s_cbranch_execnz .LBB6_296
.LBB6_66:
	s_or_b64 exec, exec, s[0:1]
	s_and_saveexec_b64 s[0:1], s[16:17]
	s_xor_b64 s[0:1], exec, s[0:1]
	s_cbranch_execnz .LBB6_297
.LBB6_67:
	s_or_b64 exec, exec, s[0:1]
	s_and_saveexec_b64 s[0:1], s[14:15]
	s_cbranch_execz .LBB6_69
.LBB6_68:
	global_load_dword v2, v[2:3], off offset:4
	s_waitcnt vmcnt(0)
	v_alignbit_b32 v2, v2, v14, 30
	v_and_b32_e32 v15, 7, v2
.LBB6_69:
	s_or_b64 exec, exec, s[0:1]
	v_alignbit_b32 v2, v11, v12, 30
	v_and_b32_e32 v2, 7, v2
	v_sub_u32_e32 v3, s22, v15
	v_add_u32_e32 v2, v3, v2
	v_cvt_f32_i32_e32 v2, v2
	s_load_dword s0, s[10:11], 0x2c
	v_lshl_add_u64 v[0:1], s[12:13], 1, v[0:1]
	s_mov_b64 s[14:15], 0
	v_cvt_f16_f32_e32 v2, v2
	s_mov_b64 s[16:17], 0
	s_waitcnt lgkmcnt(0)
	s_mul_i32 s1, s0, s12
	s_mul_i32 s0, s26, s0
	s_waitcnt vmcnt(1)
	v_mul_f16_e32 v2, v13, v2
	global_store_short v[0:1], v2, off
	v_add_u32_e32 v2, s1, v5
	s_ashr_i32 s1, s0, 31
	s_lshr_b32 s1, s1, 27
	v_ashrrev_i32_e32 v3, 31, v2
	s_add_i32 s0, s0, s1
	v_lshl_add_u64 v[2:3], v[2:3], 1, s[6:7]
	s_ashr_i32 s0, s0, 5
	global_load_ushort v12, v[2:3], off
	v_add_u32_e32 v2, s0, v9
	v_ashrrev_i32_e32 v3, 31, v2
	v_lshl_add_u64 v[2:3], v[2:3], 2, s[8:9]
	global_load_dword v13, v[2:3], off
	v_cmp_lt_i32_e64 s[0:1], 20, v10
                                        ; implicit-def: $vgpr14
	s_and_saveexec_b64 s[18:19], s[0:1]
	s_xor_b64 s[18:19], exec, s[18:19]
	s_cbranch_execnz .LBB6_306
; %bb.70:
	s_andn2_saveexec_b64 s[0:1], s[18:19]
	s_cbranch_execnz .LBB6_309
.LBB6_71:
	s_or_b64 exec, exec, s[0:1]
	s_and_saveexec_b64 s[0:1], s[16:17]
	s_xor_b64 s[0:1], exec, s[0:1]
	s_cbranch_execnz .LBB6_310
.LBB6_72:
	s_or_b64 exec, exec, s[0:1]
	s_and_saveexec_b64 s[0:1], s[14:15]
	s_cbranch_execz .LBB6_74
.LBB6_73:
	global_load_dword v2, v[2:3], off offset:4
	s_waitcnt vmcnt(0)
	v_alignbit_b32 v2, v2, v13, 30
	v_and_b32_e32 v14, 7, v2
.LBB6_74:
	s_or_b64 exec, exec, s[0:1]
	v_bfe_u32 v2, v11, 1, 3
	s_waitcnt vmcnt(3)
	v_sub_u32_e32 v3, s22, v14
	v_add_u32_e32 v2, v3, v2
	v_cvt_f32_i32_e32 v2, v2
	s_load_dword s0, s[10:11], 0x30
	v_lshl_add_u64 v[0:1], s[12:13], 1, v[0:1]
	s_mov_b64 s[14:15], 0
	v_cvt_f16_f32_e32 v2, v2
	s_mov_b64 s[16:17], 0
	s_waitcnt lgkmcnt(0)
	s_mul_i32 s1, s0, s12
	s_mul_i32 s0, s26, s0
	s_waitcnt vmcnt(1)
	v_mul_f16_e32 v2, v12, v2
	global_store_short v[0:1], v2, off
	v_add_u32_e32 v2, s1, v5
	s_ashr_i32 s1, s0, 31
	s_lshr_b32 s1, s1, 27
	v_ashrrev_i32_e32 v3, 31, v2
	s_add_i32 s0, s0, s1
	v_lshl_add_u64 v[2:3], v[2:3], 1, s[6:7]
	s_ashr_i32 s0, s0, 5
	global_load_ushort v12, v[2:3], off
	v_add_u32_e32 v2, s0, v9
	v_ashrrev_i32_e32 v3, 31, v2
	v_lshl_add_u64 v[2:3], v[2:3], 2, s[8:9]
	global_load_dword v13, v[2:3], off
	v_cmp_lt_i32_e64 s[0:1], 20, v10
                                        ; implicit-def: $vgpr14
	s_and_saveexec_b64 s[18:19], s[0:1]
	s_xor_b64 s[18:19], exec, s[18:19]
	s_cbranch_execnz .LBB6_319
; %bb.75:
	s_andn2_saveexec_b64 s[0:1], s[18:19]
	s_cbranch_execnz .LBB6_322
.LBB6_76:
	s_or_b64 exec, exec, s[0:1]
	s_and_saveexec_b64 s[0:1], s[16:17]
	s_xor_b64 s[0:1], exec, s[0:1]
	s_cbranch_execnz .LBB6_323
.LBB6_77:
	s_or_b64 exec, exec, s[0:1]
	s_and_saveexec_b64 s[0:1], s[14:15]
	s_cbranch_execz .LBB6_79
.LBB6_78:
	global_load_dword v2, v[2:3], off offset:4
	s_waitcnt vmcnt(0)
	v_alignbit_b32 v2, v2, v13, 30
	v_and_b32_e32 v14, 7, v2
.LBB6_79:
	s_or_b64 exec, exec, s[0:1]
	v_bfe_u32 v2, v11, 4, 3
	v_sub_u32_e32 v3, s22, v14
	v_add_u32_e32 v2, v3, v2
	v_cvt_f32_i32_e32 v2, v2
	s_load_dword s0, s[10:11], 0x34
	v_lshl_add_u64 v[0:1], s[12:13], 1, v[0:1]
	s_mov_b64 s[14:15], 0
	v_cvt_f16_f32_e32 v2, v2
	s_mov_b64 s[16:17], 0
	s_waitcnt lgkmcnt(0)
	s_mul_i32 s1, s0, s12
	s_mul_i32 s0, s26, s0
	s_waitcnt vmcnt(1)
	v_mul_f16_e32 v2, v12, v2
	global_store_short v[0:1], v2, off
	v_add_u32_e32 v2, s1, v5
	s_ashr_i32 s1, s0, 31
	s_lshr_b32 s1, s1, 27
	v_ashrrev_i32_e32 v3, 31, v2
	s_add_i32 s0, s0, s1
	v_lshl_add_u64 v[2:3], v[2:3], 1, s[6:7]
	s_ashr_i32 s0, s0, 5
	global_load_ushort v12, v[2:3], off
	v_add_u32_e32 v2, s0, v9
	v_ashrrev_i32_e32 v3, 31, v2
	v_lshl_add_u64 v[2:3], v[2:3], 2, s[8:9]
	global_load_dword v13, v[2:3], off
	v_cmp_lt_i32_e64 s[0:1], 20, v10
                                        ; implicit-def: $vgpr14
	s_and_saveexec_b64 s[18:19], s[0:1]
	s_xor_b64 s[18:19], exec, s[18:19]
	s_cbranch_execnz .LBB6_332
; %bb.80:
	s_andn2_saveexec_b64 s[0:1], s[18:19]
	s_cbranch_execnz .LBB6_335
.LBB6_81:
	s_or_b64 exec, exec, s[0:1]
	s_and_saveexec_b64 s[0:1], s[16:17]
	s_xor_b64 s[0:1], exec, s[0:1]
	s_cbranch_execnz .LBB6_336
.LBB6_82:
	s_or_b64 exec, exec, s[0:1]
	s_and_saveexec_b64 s[0:1], s[14:15]
	s_cbranch_execz .LBB6_84
.LBB6_83:
	global_load_dword v2, v[2:3], off offset:4
	s_waitcnt vmcnt(0)
	v_alignbit_b32 v2, v2, v13, 30
	v_and_b32_e32 v14, 7, v2
.LBB6_84:
	s_or_b64 exec, exec, s[0:1]
	v_bfe_u32 v2, v11, 7, 3
	v_sub_u32_e32 v3, s22, v14
	v_add_u32_e32 v2, v3, v2
	v_cvt_f32_i32_e32 v2, v2
	s_load_dword s0, s[10:11], 0x38
	v_lshl_add_u64 v[0:1], s[12:13], 1, v[0:1]
	s_mov_b64 s[14:15], 0
	v_cvt_f16_f32_e32 v2, v2
	s_mov_b64 s[16:17], 0
	s_waitcnt lgkmcnt(0)
	s_mul_i32 s1, s0, s12
	s_mul_i32 s0, s26, s0
	s_waitcnt vmcnt(1)
	v_mul_f16_e32 v2, v12, v2
	global_store_short v[0:1], v2, off
	v_add_u32_e32 v2, s1, v5
	s_ashr_i32 s1, s0, 31
	s_lshr_b32 s1, s1, 27
	v_ashrrev_i32_e32 v3, 31, v2
	s_add_i32 s0, s0, s1
	v_lshl_add_u64 v[2:3], v[2:3], 1, s[6:7]
	s_ashr_i32 s0, s0, 5
	global_load_ushort v12, v[2:3], off
	v_add_u32_e32 v2, s0, v9
	v_ashrrev_i32_e32 v3, 31, v2
	v_lshl_add_u64 v[2:3], v[2:3], 2, s[8:9]
	global_load_dword v13, v[2:3], off
	v_cmp_lt_i32_e64 s[0:1], 20, v10
                                        ; implicit-def: $vgpr14
	s_and_saveexec_b64 s[18:19], s[0:1]
	s_xor_b64 s[18:19], exec, s[18:19]
	s_cbranch_execnz .LBB6_345
; %bb.85:
	s_andn2_saveexec_b64 s[0:1], s[18:19]
	s_cbranch_execnz .LBB6_348
.LBB6_86:
	s_or_b64 exec, exec, s[0:1]
	s_and_saveexec_b64 s[0:1], s[16:17]
	s_xor_b64 s[0:1], exec, s[0:1]
	s_cbranch_execnz .LBB6_349
.LBB6_87:
	s_or_b64 exec, exec, s[0:1]
	s_and_saveexec_b64 s[0:1], s[14:15]
	s_cbranch_execz .LBB6_89
.LBB6_88:
	global_load_dword v2, v[2:3], off offset:4
	s_waitcnt vmcnt(0)
	v_alignbit_b32 v2, v2, v13, 30
	v_and_b32_e32 v14, 7, v2
.LBB6_89:
	s_or_b64 exec, exec, s[0:1]
	v_bfe_u32 v2, v11, 10, 3
	v_sub_u32_e32 v3, s22, v14
	v_add_u32_e32 v2, v3, v2
	v_cvt_f32_i32_e32 v2, v2
	s_load_dword s0, s[10:11], 0x3c
	v_lshl_add_u64 v[0:1], s[12:13], 1, v[0:1]
	s_mov_b64 s[14:15], 0
	v_cvt_f16_f32_e32 v2, v2
	s_mov_b64 s[16:17], 0
	s_waitcnt lgkmcnt(0)
	s_mul_i32 s1, s0, s12
	s_mul_i32 s0, s26, s0
	s_waitcnt vmcnt(1)
	v_mul_f16_e32 v2, v12, v2
	global_store_short v[0:1], v2, off
	v_add_u32_e32 v2, s1, v5
	s_ashr_i32 s1, s0, 31
	s_lshr_b32 s1, s1, 27
	v_ashrrev_i32_e32 v3, 31, v2
	s_add_i32 s0, s0, s1
	v_lshl_add_u64 v[2:3], v[2:3], 1, s[6:7]
	s_ashr_i32 s0, s0, 5
	global_load_ushort v12, v[2:3], off
	v_add_u32_e32 v2, s0, v9
	v_ashrrev_i32_e32 v3, 31, v2
	v_lshl_add_u64 v[2:3], v[2:3], 2, s[8:9]
	global_load_dword v13, v[2:3], off
	v_cmp_lt_i32_e64 s[0:1], 20, v10
                                        ; implicit-def: $vgpr14
	s_and_saveexec_b64 s[18:19], s[0:1]
	s_xor_b64 s[18:19], exec, s[18:19]
	s_cbranch_execnz .LBB6_358
; %bb.90:
	s_andn2_saveexec_b64 s[0:1], s[18:19]
	s_cbranch_execnz .LBB6_361
.LBB6_91:
	s_or_b64 exec, exec, s[0:1]
	s_and_saveexec_b64 s[0:1], s[16:17]
	s_xor_b64 s[0:1], exec, s[0:1]
	s_cbranch_execnz .LBB6_362
.LBB6_92:
	s_or_b64 exec, exec, s[0:1]
	s_and_saveexec_b64 s[0:1], s[14:15]
	s_cbranch_execz .LBB6_94
.LBB6_93:
	global_load_dword v2, v[2:3], off offset:4
	s_waitcnt vmcnt(0)
	v_alignbit_b32 v2, v2, v13, 30
	v_and_b32_e32 v14, 7, v2
.LBB6_94:
	s_or_b64 exec, exec, s[0:1]
	v_bfe_u32 v2, v11, 13, 3
	v_sub_u32_e32 v3, s22, v14
	v_add_u32_e32 v2, v3, v2
	v_cvt_f32_i32_e32 v2, v2
	s_load_dword s0, s[10:11], 0x40
	v_lshl_add_u64 v[0:1], s[12:13], 1, v[0:1]
	s_mov_b64 s[14:15], 0
	v_cvt_f16_f32_e32 v2, v2
	s_mov_b64 s[16:17], 0
	s_waitcnt lgkmcnt(0)
	s_mul_i32 s1, s0, s12
	s_mul_i32 s0, s26, s0
	s_waitcnt vmcnt(1)
	v_mul_f16_e32 v2, v12, v2
	global_store_short v[0:1], v2, off
	v_add_u32_e32 v2, s1, v5
	s_ashr_i32 s1, s0, 31
	s_lshr_b32 s1, s1, 27
	v_ashrrev_i32_e32 v3, 31, v2
	s_add_i32 s0, s0, s1
	v_lshl_add_u64 v[2:3], v[2:3], 1, s[6:7]
	s_ashr_i32 s0, s0, 5
	global_load_ushort v12, v[2:3], off
	v_add_u32_e32 v2, s0, v9
	v_ashrrev_i32_e32 v3, 31, v2
	v_lshl_add_u64 v[2:3], v[2:3], 2, s[8:9]
	global_load_dword v13, v[2:3], off
	v_cmp_lt_i32_e64 s[0:1], 20, v10
                                        ; implicit-def: $vgpr14
	s_and_saveexec_b64 s[18:19], s[0:1]
	s_xor_b64 s[18:19], exec, s[18:19]
	s_cbranch_execnz .LBB6_371
; %bb.95:
	s_andn2_saveexec_b64 s[0:1], s[18:19]
	s_cbranch_execnz .LBB6_374
.LBB6_96:
	s_or_b64 exec, exec, s[0:1]
	s_and_saveexec_b64 s[0:1], s[16:17]
	s_xor_b64 s[0:1], exec, s[0:1]
	s_cbranch_execnz .LBB6_375
.LBB6_97:
	s_or_b64 exec, exec, s[0:1]
	s_and_saveexec_b64 s[0:1], s[14:15]
	s_cbranch_execz .LBB6_99
.LBB6_98:
	global_load_dword v2, v[2:3], off offset:4
	s_waitcnt vmcnt(0)
	v_alignbit_b32 v2, v2, v13, 30
	v_and_b32_e32 v14, 7, v2
.LBB6_99:
	s_or_b64 exec, exec, s[0:1]
	v_bfe_u32 v2, v11, 16, 3
	v_sub_u32_e32 v3, s22, v14
	v_add_u32_e32 v2, v3, v2
	v_cvt_f32_i32_e32 v2, v2
	s_load_dword s0, s[10:11], 0x44
	v_lshl_add_u64 v[0:1], s[12:13], 1, v[0:1]
	s_mov_b64 s[14:15], 0
	v_cvt_f16_f32_e32 v2, v2
	s_mov_b64 s[16:17], 0
	s_waitcnt lgkmcnt(0)
	s_mul_i32 s1, s0, s12
	s_mul_i32 s0, s26, s0
	s_waitcnt vmcnt(1)
	v_mul_f16_e32 v2, v12, v2
	global_store_short v[0:1], v2, off
	v_add_u32_e32 v2, s1, v5
	s_ashr_i32 s1, s0, 31
	s_lshr_b32 s1, s1, 27
	v_ashrrev_i32_e32 v3, 31, v2
	s_add_i32 s0, s0, s1
	v_lshl_add_u64 v[2:3], v[2:3], 1, s[6:7]
	s_ashr_i32 s0, s0, 5
	global_load_ushort v12, v[2:3], off
	v_add_u32_e32 v2, s0, v9
	v_ashrrev_i32_e32 v3, 31, v2
	v_lshl_add_u64 v[2:3], v[2:3], 2, s[8:9]
	global_load_dword v13, v[2:3], off
	v_cmp_lt_i32_e64 s[0:1], 20, v10
                                        ; implicit-def: $vgpr14
	s_and_saveexec_b64 s[18:19], s[0:1]
	s_xor_b64 s[18:19], exec, s[18:19]
	s_cbranch_execnz .LBB6_384
; %bb.100:
	s_andn2_saveexec_b64 s[0:1], s[18:19]
	s_cbranch_execnz .LBB6_387
.LBB6_101:
	s_or_b64 exec, exec, s[0:1]
	s_and_saveexec_b64 s[0:1], s[16:17]
	s_xor_b64 s[0:1], exec, s[0:1]
	s_cbranch_execnz .LBB6_388
.LBB6_102:
	s_or_b64 exec, exec, s[0:1]
	s_and_saveexec_b64 s[0:1], s[14:15]
	s_cbranch_execz .LBB6_104
.LBB6_103:
	global_load_dword v2, v[2:3], off offset:4
	s_waitcnt vmcnt(0)
	v_alignbit_b32 v2, v2, v13, 30
	v_and_b32_e32 v14, 7, v2
.LBB6_104:
	s_or_b64 exec, exec, s[0:1]
	v_bfe_u32 v2, v11, 19, 3
	v_sub_u32_e32 v3, s22, v14
	v_add_u32_e32 v2, v3, v2
	v_cvt_f32_i32_e32 v2, v2
	s_load_dword s0, s[10:11], 0x48
	v_lshl_add_u64 v[0:1], s[12:13], 1, v[0:1]
	s_mov_b64 s[14:15], 0
	v_cvt_f16_f32_e32 v2, v2
	s_mov_b64 s[16:17], 0
	s_waitcnt lgkmcnt(0)
	s_mul_i32 s1, s0, s12
	s_mul_i32 s0, s26, s0
	s_waitcnt vmcnt(1)
	v_mul_f16_e32 v2, v12, v2
	global_store_short v[0:1], v2, off
	v_add_u32_e32 v2, s1, v5
	s_ashr_i32 s1, s0, 31
	s_lshr_b32 s1, s1, 27
	v_ashrrev_i32_e32 v3, 31, v2
	s_add_i32 s0, s0, s1
	v_lshl_add_u64 v[2:3], v[2:3], 1, s[6:7]
	s_ashr_i32 s0, s0, 5
	global_load_ushort v12, v[2:3], off
	v_add_u32_e32 v2, s0, v9
	v_ashrrev_i32_e32 v3, 31, v2
	v_lshl_add_u64 v[2:3], v[2:3], 2, s[8:9]
	global_load_dword v13, v[2:3], off
	v_cmp_lt_i32_e64 s[0:1], 20, v10
                                        ; implicit-def: $vgpr14
	s_and_saveexec_b64 s[18:19], s[0:1]
	s_xor_b64 s[18:19], exec, s[18:19]
	s_cbranch_execnz .LBB6_397
; %bb.105:
	s_andn2_saveexec_b64 s[0:1], s[18:19]
	s_cbranch_execnz .LBB6_400
.LBB6_106:
	s_or_b64 exec, exec, s[0:1]
	s_and_saveexec_b64 s[0:1], s[16:17]
	s_xor_b64 s[0:1], exec, s[0:1]
	s_cbranch_execnz .LBB6_401
.LBB6_107:
	s_or_b64 exec, exec, s[0:1]
	s_and_saveexec_b64 s[0:1], s[14:15]
	s_cbranch_execz .LBB6_109
.LBB6_108:
	global_load_dword v2, v[2:3], off offset:4
	s_waitcnt vmcnt(0)
	v_alignbit_b32 v2, v2, v13, 30
	v_and_b32_e32 v14, 7, v2
.LBB6_109:
	s_or_b64 exec, exec, s[0:1]
	v_bfe_u32 v2, v11, 22, 3
	v_sub_u32_e32 v3, s22, v14
	v_add_u32_e32 v2, v3, v2
	v_cvt_f32_i32_e32 v2, v2
	s_load_dword s0, s[10:11], 0x4c
	v_lshl_add_u64 v[0:1], s[12:13], 1, v[0:1]
	s_mov_b64 s[14:15], 0
	v_cvt_f16_f32_e32 v2, v2
	s_mov_b64 s[16:17], 0
	s_waitcnt lgkmcnt(0)
	s_mul_i32 s1, s0, s12
	s_mul_i32 s0, s26, s0
	s_waitcnt vmcnt(1)
	v_mul_f16_e32 v2, v12, v2
	global_store_short v[0:1], v2, off
	v_add_u32_e32 v2, s1, v5
	s_ashr_i32 s1, s0, 31
	s_lshr_b32 s1, s1, 27
	v_ashrrev_i32_e32 v3, 31, v2
	s_add_i32 s0, s0, s1
	v_lshl_add_u64 v[2:3], v[2:3], 1, s[6:7]
	s_ashr_i32 s0, s0, 5
	global_load_ushort v12, v[2:3], off
	v_add_u32_e32 v2, s0, v9
	v_ashrrev_i32_e32 v3, 31, v2
	v_lshl_add_u64 v[2:3], v[2:3], 2, s[8:9]
	global_load_dword v13, v[2:3], off
	v_cmp_lt_i32_e64 s[0:1], 20, v10
                                        ; implicit-def: $vgpr14
	s_and_saveexec_b64 s[18:19], s[0:1]
	s_xor_b64 s[18:19], exec, s[18:19]
	s_cbranch_execnz .LBB6_410
; %bb.110:
	s_andn2_saveexec_b64 s[0:1], s[18:19]
	s_cbranch_execnz .LBB6_413
.LBB6_111:
	s_or_b64 exec, exec, s[0:1]
	s_and_saveexec_b64 s[0:1], s[16:17]
	s_xor_b64 s[0:1], exec, s[0:1]
	s_cbranch_execnz .LBB6_414
.LBB6_112:
	s_or_b64 exec, exec, s[0:1]
	s_and_saveexec_b64 s[0:1], s[14:15]
	s_cbranch_execz .LBB6_114
.LBB6_113:
	global_load_dword v2, v[2:3], off offset:4
	s_waitcnt vmcnt(0)
	v_alignbit_b32 v2, v2, v13, 30
	v_and_b32_e32 v14, 7, v2
.LBB6_114:
	s_or_b64 exec, exec, s[0:1]
	v_bfe_u32 v2, v11, 25, 3
	v_sub_u32_e32 v3, s22, v14
	v_add_u32_e32 v2, v3, v2
	v_cvt_f32_i32_e32 v2, v2
	s_load_dword s0, s[10:11], 0x50
	v_lshl_add_u64 v[0:1], s[12:13], 1, v[0:1]
	s_mov_b64 s[14:15], 0
	v_cvt_f16_f32_e32 v2, v2
	s_mov_b64 s[16:17], 0
	s_waitcnt lgkmcnt(0)
	s_mul_i32 s1, s0, s12
	s_mul_i32 s0, s26, s0
	s_waitcnt vmcnt(1)
	v_mul_f16_e32 v2, v12, v2
	global_store_short v[0:1], v2, off
	v_add_u32_e32 v2, s1, v5
	s_ashr_i32 s1, s0, 31
	s_lshr_b32 s1, s1, 27
	v_ashrrev_i32_e32 v3, 31, v2
	s_add_i32 s0, s0, s1
	v_lshl_add_u64 v[2:3], v[2:3], 1, s[6:7]
	s_ashr_i32 s0, s0, 5
	global_load_ushort v12, v[2:3], off
	v_add_u32_e32 v2, s0, v9
	v_ashrrev_i32_e32 v3, 31, v2
	v_lshl_add_u64 v[2:3], v[2:3], 2, s[8:9]
	global_load_dword v13, v[2:3], off
	v_cmp_lt_i32_e64 s[0:1], 20, v10
                                        ; implicit-def: $vgpr14
	s_and_saveexec_b64 s[18:19], s[0:1]
	s_xor_b64 s[18:19], exec, s[18:19]
	s_cbranch_execnz .LBB6_423
; %bb.115:
	s_andn2_saveexec_b64 s[0:1], s[18:19]
	s_cbranch_execnz .LBB6_426
.LBB6_116:
	s_or_b64 exec, exec, s[0:1]
	s_and_saveexec_b64 s[0:1], s[16:17]
	s_xor_b64 s[0:1], exec, s[0:1]
	s_cbranch_execnz .LBB6_427
.LBB6_117:
	s_or_b64 exec, exec, s[0:1]
	s_and_saveexec_b64 s[0:1], s[14:15]
	s_cbranch_execz .LBB6_119
.LBB6_118:
	global_load_dword v2, v[2:3], off offset:4
	s_waitcnt vmcnt(0)
	v_alignbit_b32 v2, v2, v13, 30
	v_and_b32_e32 v14, 7, v2
.LBB6_119:
	s_or_b64 exec, exec, s[0:1]
	v_bfe_u32 v2, v11, 28, 3
	v_sub_u32_e32 v3, s22, v14
	v_add_u32_e32 v2, v3, v2
	v_cvt_f32_i32_e32 v2, v2
	v_lshl_add_u64 v[0:1], s[12:13], 1, v[0:1]
	s_mov_b64 s[14:15], 0
	s_mov_b64 s[16:17], 0
	v_cvt_f16_f32_e32 v2, v2
                                        ; implicit-def: $vgpr14
	s_waitcnt vmcnt(1)
	v_mul_f16_e32 v2, v12, v2
	global_store_short v[0:1], v2, off
	s_load_dword s0, s[10:11], 0x54
	s_waitcnt lgkmcnt(0)
	s_mul_i32 s1, s0, s12
	s_mul_i32 s0, s26, s0
	v_add_u32_e32 v2, s1, v5
	s_ashr_i32 s1, s0, 31
	s_lshr_b32 s1, s1, 27
	v_ashrrev_i32_e32 v3, 31, v2
	s_add_i32 s0, s0, s1
	v_lshl_add_u64 v[2:3], v[2:3], 1, s[6:7]
	s_ashr_i32 s0, s0, 5
	global_load_ushort v12, v[2:3], off
	v_add_u32_e32 v2, s0, v9
	v_ashrrev_i32_e32 v3, 31, v2
	v_lshl_add_u64 v[2:3], v[2:3], 2, s[8:9]
	global_load_dword v13, v[2:3], off
	v_cmp_lt_i32_e64 s[0:1], 20, v10
	s_and_saveexec_b64 s[18:19], s[0:1]
	s_xor_b64 s[18:19], exec, s[18:19]
	s_cbranch_execnz .LBB6_436
; %bb.120:
	s_andn2_saveexec_b64 s[0:1], s[18:19]
	s_cbranch_execnz .LBB6_439
.LBB6_121:
	s_or_b64 exec, exec, s[0:1]
	s_and_saveexec_b64 s[0:1], s[16:17]
	s_xor_b64 s[0:1], exec, s[0:1]
	s_cbranch_execnz .LBB6_440
.LBB6_122:
	s_or_b64 exec, exec, s[0:1]
	s_and_saveexec_b64 s[0:1], s[14:15]
	s_cbranch_execz .LBB6_124
.LBB6_123:
	global_load_dword v2, v[2:3], off offset:4
	s_waitcnt vmcnt(0)
	v_alignbit_b32 v2, v2, v13, 30
	v_and_b32_e32 v14, 7, v2
.LBB6_124:
	s_or_b64 exec, exec, s[0:1]
	v_alignbit_b32 v2, v4, v11, 31
	v_and_b32_e32 v2, 7, v2
	v_sub_u32_e32 v3, s22, v14
	v_add_u32_e32 v2, v3, v2
	v_cvt_f32_i32_e32 v2, v2
	v_lshl_add_u64 v[0:1], s[12:13], 1, v[0:1]
	s_mov_b64 s[14:15], 0
	s_mov_b64 s[16:17], 0
	v_cvt_f16_f32_e32 v2, v2
                                        ; implicit-def: $vgpr13
	s_waitcnt vmcnt(1)
	v_mul_f16_e32 v2, v12, v2
	global_store_short v[0:1], v2, off
	s_load_dword s0, s[10:11], 0x58
	s_waitcnt lgkmcnt(0)
	s_mul_i32 s1, s0, s12
	s_mul_i32 s0, s26, s0
	v_add_u32_e32 v2, s1, v5
	s_ashr_i32 s1, s0, 31
	s_lshr_b32 s1, s1, 27
	v_ashrrev_i32_e32 v3, 31, v2
	s_add_i32 s0, s0, s1
	v_lshl_add_u64 v[2:3], v[2:3], 1, s[6:7]
	s_ashr_i32 s0, s0, 5
	global_load_ushort v11, v[2:3], off
	v_add_u32_e32 v2, s0, v9
	v_ashrrev_i32_e32 v3, 31, v2
	v_lshl_add_u64 v[2:3], v[2:3], 2, s[8:9]
	global_load_dword v12, v[2:3], off
	v_cmp_lt_i32_e64 s[0:1], 20, v10
	s_and_saveexec_b64 s[18:19], s[0:1]
	s_xor_b64 s[18:19], exec, s[18:19]
	s_cbranch_execnz .LBB6_449
; %bb.125:
	s_andn2_saveexec_b64 s[0:1], s[18:19]
	s_cbranch_execnz .LBB6_452
.LBB6_126:
	s_or_b64 exec, exec, s[0:1]
	s_and_saveexec_b64 s[0:1], s[16:17]
	s_xor_b64 s[0:1], exec, s[0:1]
	s_cbranch_execnz .LBB6_453
.LBB6_127:
	s_or_b64 exec, exec, s[0:1]
	s_and_saveexec_b64 s[0:1], s[14:15]
	s_cbranch_execz .LBB6_129
.LBB6_128:
	global_load_dword v2, v[2:3], off offset:4
	s_waitcnt vmcnt(0)
	v_alignbit_b32 v2, v2, v12, 30
	v_and_b32_e32 v13, 7, v2
.LBB6_129:
	s_or_b64 exec, exec, s[0:1]
	v_bfe_u32 v2, v4, 2, 3
	s_waitcnt vmcnt(3)
	v_sub_u32_e32 v3, s22, v13
	v_add_u32_e32 v2, v3, v2
	v_cvt_f32_i32_e32 v2, v2
	v_lshl_add_u64 v[0:1], s[12:13], 1, v[0:1]
	s_mov_b64 s[14:15], 0
	s_mov_b64 s[16:17], 0
	v_cvt_f16_f32_e32 v2, v2
                                        ; implicit-def: $vgpr13
	s_waitcnt vmcnt(1)
	v_mul_f16_e32 v2, v11, v2
	global_store_short v[0:1], v2, off
	s_load_dword s0, s[10:11], 0x5c
	s_waitcnt lgkmcnt(0)
	s_mul_i32 s1, s0, s12
	s_mul_i32 s0, s26, s0
	v_add_u32_e32 v2, s1, v5
	s_ashr_i32 s1, s0, 31
	s_lshr_b32 s1, s1, 27
	v_ashrrev_i32_e32 v3, 31, v2
	s_add_i32 s0, s0, s1
	v_lshl_add_u64 v[2:3], v[2:3], 1, s[6:7]
	s_ashr_i32 s0, s0, 5
	global_load_ushort v11, v[2:3], off
	v_add_u32_e32 v2, s0, v9
	v_ashrrev_i32_e32 v3, 31, v2
	v_lshl_add_u64 v[2:3], v[2:3], 2, s[8:9]
	global_load_dword v12, v[2:3], off
	v_cmp_lt_i32_e64 s[0:1], 20, v10
	s_and_saveexec_b64 s[18:19], s[0:1]
	s_xor_b64 s[18:19], exec, s[18:19]
	s_cbranch_execnz .LBB6_462
; %bb.130:
	s_andn2_saveexec_b64 s[0:1], s[18:19]
	s_cbranch_execnz .LBB6_465
.LBB6_131:
	s_or_b64 exec, exec, s[0:1]
	s_and_saveexec_b64 s[0:1], s[16:17]
	s_xor_b64 s[0:1], exec, s[0:1]
	s_cbranch_execnz .LBB6_466
.LBB6_132:
	s_or_b64 exec, exec, s[0:1]
	s_and_saveexec_b64 s[0:1], s[14:15]
	s_cbranch_execz .LBB6_134
.LBB6_133:
	global_load_dword v2, v[2:3], off offset:4
	s_waitcnt vmcnt(0)
	v_alignbit_b32 v2, v2, v12, 30
	v_and_b32_e32 v13, 7, v2
.LBB6_134:
	s_or_b64 exec, exec, s[0:1]
	v_bfe_u32 v2, v4, 5, 3
	v_sub_u32_e32 v3, s22, v13
	v_add_u32_e32 v2, v3, v2
	v_cvt_f32_i32_e32 v2, v2
	v_lshl_add_u64 v[0:1], s[12:13], 1, v[0:1]
	s_mov_b64 s[14:15], 0
	s_mov_b64 s[16:17], 0
	v_cvt_f16_f32_e32 v2, v2
                                        ; implicit-def: $vgpr13
	s_waitcnt vmcnt(1)
	v_mul_f16_e32 v2, v11, v2
	global_store_short v[0:1], v2, off
	s_load_dword s0, s[10:11], 0x60
	s_waitcnt lgkmcnt(0)
	s_mul_i32 s1, s0, s12
	s_mul_i32 s0, s26, s0
	v_add_u32_e32 v2, s1, v5
	s_ashr_i32 s1, s0, 31
	s_lshr_b32 s1, s1, 27
	v_ashrrev_i32_e32 v3, 31, v2
	s_add_i32 s0, s0, s1
	v_lshl_add_u64 v[2:3], v[2:3], 1, s[6:7]
	s_ashr_i32 s0, s0, 5
	global_load_ushort v11, v[2:3], off
	v_add_u32_e32 v2, s0, v9
	v_ashrrev_i32_e32 v3, 31, v2
	v_lshl_add_u64 v[2:3], v[2:3], 2, s[8:9]
	global_load_dword v12, v[2:3], off
	v_cmp_lt_i32_e64 s[0:1], 20, v10
	s_and_saveexec_b64 s[18:19], s[0:1]
	s_xor_b64 s[18:19], exec, s[18:19]
	s_cbranch_execnz .LBB6_475
; %bb.135:
	s_andn2_saveexec_b64 s[0:1], s[18:19]
	s_cbranch_execnz .LBB6_478
.LBB6_136:
	s_or_b64 exec, exec, s[0:1]
	s_and_saveexec_b64 s[0:1], s[16:17]
	s_xor_b64 s[0:1], exec, s[0:1]
	s_cbranch_execnz .LBB6_479
.LBB6_137:
	s_or_b64 exec, exec, s[0:1]
	s_and_saveexec_b64 s[0:1], s[14:15]
	s_cbranch_execz .LBB6_139
.LBB6_138:
	global_load_dword v2, v[2:3], off offset:4
	s_waitcnt vmcnt(0)
	v_alignbit_b32 v2, v2, v12, 30
	v_and_b32_e32 v13, 7, v2
.LBB6_139:
	s_or_b64 exec, exec, s[0:1]
	v_bfe_u32 v2, v4, 8, 3
	v_sub_u32_e32 v3, s22, v13
	v_add_u32_e32 v2, v3, v2
	v_cvt_f32_i32_e32 v2, v2
	v_lshl_add_u64 v[0:1], s[12:13], 1, v[0:1]
	s_mov_b64 s[14:15], 0
	s_mov_b64 s[16:17], 0
	v_cvt_f16_f32_e32 v2, v2
                                        ; implicit-def: $vgpr13
	s_waitcnt vmcnt(1)
	v_mul_f16_e32 v2, v11, v2
	global_store_short v[0:1], v2, off
	s_load_dword s0, s[10:11], 0x64
	s_waitcnt lgkmcnt(0)
	s_mul_i32 s1, s0, s12
	s_mul_i32 s0, s26, s0
	v_add_u32_e32 v2, s1, v5
	s_ashr_i32 s1, s0, 31
	s_lshr_b32 s1, s1, 27
	v_ashrrev_i32_e32 v3, 31, v2
	s_add_i32 s0, s0, s1
	v_lshl_add_u64 v[2:3], v[2:3], 1, s[6:7]
	s_ashr_i32 s0, s0, 5
	global_load_ushort v11, v[2:3], off
	v_add_u32_e32 v2, s0, v9
	v_ashrrev_i32_e32 v3, 31, v2
	v_lshl_add_u64 v[2:3], v[2:3], 2, s[8:9]
	global_load_dword v12, v[2:3], off
	v_cmp_lt_i32_e64 s[0:1], 20, v10
	s_and_saveexec_b64 s[18:19], s[0:1]
	s_xor_b64 s[18:19], exec, s[18:19]
	s_cbranch_execnz .LBB6_488
; %bb.140:
	s_andn2_saveexec_b64 s[0:1], s[18:19]
	s_cbranch_execnz .LBB6_491
.LBB6_141:
	s_or_b64 exec, exec, s[0:1]
	s_and_saveexec_b64 s[0:1], s[16:17]
	s_xor_b64 s[0:1], exec, s[0:1]
	s_cbranch_execnz .LBB6_492
.LBB6_142:
	s_or_b64 exec, exec, s[0:1]
	s_and_saveexec_b64 s[0:1], s[14:15]
	s_cbranch_execz .LBB6_144
.LBB6_143:
	global_load_dword v2, v[2:3], off offset:4
	s_waitcnt vmcnt(0)
	v_alignbit_b32 v2, v2, v12, 30
	v_and_b32_e32 v13, 7, v2
.LBB6_144:
	s_or_b64 exec, exec, s[0:1]
	v_bfe_u32 v2, v4, 11, 3
	v_sub_u32_e32 v3, s22, v13
	v_add_u32_e32 v2, v3, v2
	v_cvt_f32_i32_e32 v2, v2
	v_lshl_add_u64 v[0:1], s[12:13], 1, v[0:1]
	s_mov_b64 s[14:15], 0
	s_mov_b64 s[16:17], 0
	v_cvt_f16_f32_e32 v2, v2
                                        ; implicit-def: $vgpr13
	s_waitcnt vmcnt(1)
	v_mul_f16_e32 v2, v11, v2
	global_store_short v[0:1], v2, off
	s_load_dword s0, s[10:11], 0x68
	s_waitcnt lgkmcnt(0)
	s_mul_i32 s1, s0, s12
	s_mul_i32 s0, s26, s0
	v_add_u32_e32 v2, s1, v5
	s_ashr_i32 s1, s0, 31
	s_lshr_b32 s1, s1, 27
	v_ashrrev_i32_e32 v3, 31, v2
	s_add_i32 s0, s0, s1
	v_lshl_add_u64 v[2:3], v[2:3], 1, s[6:7]
	s_ashr_i32 s0, s0, 5
	global_load_ushort v11, v[2:3], off
	v_add_u32_e32 v2, s0, v9
	v_ashrrev_i32_e32 v3, 31, v2
	v_lshl_add_u64 v[2:3], v[2:3], 2, s[8:9]
	global_load_dword v12, v[2:3], off
	v_cmp_lt_i32_e64 s[0:1], 20, v10
	s_and_saveexec_b64 s[18:19], s[0:1]
	s_xor_b64 s[18:19], exec, s[18:19]
	s_cbranch_execnz .LBB6_501
; %bb.145:
	s_andn2_saveexec_b64 s[0:1], s[18:19]
	s_cbranch_execnz .LBB6_504
.LBB6_146:
	s_or_b64 exec, exec, s[0:1]
	s_and_saveexec_b64 s[0:1], s[16:17]
	s_xor_b64 s[0:1], exec, s[0:1]
	s_cbranch_execnz .LBB6_505
.LBB6_147:
	s_or_b64 exec, exec, s[0:1]
	s_and_saveexec_b64 s[0:1], s[14:15]
	s_cbranch_execz .LBB6_149
.LBB6_148:
	global_load_dword v2, v[2:3], off offset:4
	s_waitcnt vmcnt(0)
	v_alignbit_b32 v2, v2, v12, 30
	v_and_b32_e32 v13, 7, v2
.LBB6_149:
	s_or_b64 exec, exec, s[0:1]
	v_bfe_u32 v2, v4, 14, 3
	v_sub_u32_e32 v3, s22, v13
	v_add_u32_e32 v2, v3, v2
	v_cvt_f32_i32_e32 v2, v2
	v_lshl_add_u64 v[0:1], s[12:13], 1, v[0:1]
	s_mov_b64 s[14:15], 0
	s_mov_b64 s[16:17], 0
	v_cvt_f16_f32_e32 v2, v2
                                        ; implicit-def: $vgpr13
	s_waitcnt vmcnt(1)
	v_mul_f16_e32 v2, v11, v2
	global_store_short v[0:1], v2, off
	s_load_dword s0, s[10:11], 0x6c
	s_waitcnt lgkmcnt(0)
	s_mul_i32 s1, s0, s12
	s_mul_i32 s0, s26, s0
	v_add_u32_e32 v2, s1, v5
	s_ashr_i32 s1, s0, 31
	s_lshr_b32 s1, s1, 27
	v_ashrrev_i32_e32 v3, 31, v2
	s_add_i32 s0, s0, s1
	v_lshl_add_u64 v[2:3], v[2:3], 1, s[6:7]
	s_ashr_i32 s0, s0, 5
	global_load_ushort v11, v[2:3], off
	v_add_u32_e32 v2, s0, v9
	v_ashrrev_i32_e32 v3, 31, v2
	v_lshl_add_u64 v[2:3], v[2:3], 2, s[8:9]
	global_load_dword v12, v[2:3], off
	v_cmp_lt_i32_e64 s[0:1], 20, v10
	s_and_saveexec_b64 s[18:19], s[0:1]
	s_xor_b64 s[18:19], exec, s[18:19]
	s_cbranch_execnz .LBB6_514
; %bb.150:
	s_andn2_saveexec_b64 s[0:1], s[18:19]
	s_cbranch_execnz .LBB6_517
.LBB6_151:
	s_or_b64 exec, exec, s[0:1]
	s_and_saveexec_b64 s[0:1], s[16:17]
	s_xor_b64 s[0:1], exec, s[0:1]
	s_cbranch_execnz .LBB6_518
.LBB6_152:
	s_or_b64 exec, exec, s[0:1]
	s_and_saveexec_b64 s[0:1], s[14:15]
	s_cbranch_execz .LBB6_154
.LBB6_153:
	global_load_dword v2, v[2:3], off offset:4
	s_waitcnt vmcnt(0)
	v_alignbit_b32 v2, v2, v12, 30
	v_and_b32_e32 v13, 7, v2
.LBB6_154:
	s_or_b64 exec, exec, s[0:1]
	v_bfe_u32 v2, v4, 17, 3
	v_sub_u32_e32 v3, s22, v13
	v_add_u32_e32 v2, v3, v2
	v_cvt_f32_i32_e32 v2, v2
	v_lshl_add_u64 v[0:1], s[12:13], 1, v[0:1]
	s_mov_b64 s[14:15], 0
	s_mov_b64 s[16:17], 0
	v_cvt_f16_f32_e32 v2, v2
                                        ; implicit-def: $vgpr13
	s_waitcnt vmcnt(1)
	v_mul_f16_e32 v2, v11, v2
	global_store_short v[0:1], v2, off
	s_load_dword s0, s[10:11], 0x70
	s_waitcnt lgkmcnt(0)
	s_mul_i32 s1, s0, s12
	s_mul_i32 s0, s26, s0
	v_add_u32_e32 v2, s1, v5
	s_ashr_i32 s1, s0, 31
	s_lshr_b32 s1, s1, 27
	v_ashrrev_i32_e32 v3, 31, v2
	s_add_i32 s0, s0, s1
	v_lshl_add_u64 v[2:3], v[2:3], 1, s[6:7]
	s_ashr_i32 s0, s0, 5
	global_load_ushort v11, v[2:3], off
	v_add_u32_e32 v2, s0, v9
	v_ashrrev_i32_e32 v3, 31, v2
	v_lshl_add_u64 v[2:3], v[2:3], 2, s[8:9]
	global_load_dword v12, v[2:3], off
	v_cmp_lt_i32_e64 s[0:1], 20, v10
	s_and_saveexec_b64 s[18:19], s[0:1]
	s_xor_b64 s[18:19], exec, s[18:19]
	s_cbranch_execnz .LBB6_527
; %bb.155:
	s_andn2_saveexec_b64 s[0:1], s[18:19]
	s_cbranch_execnz .LBB6_530
.LBB6_156:
	s_or_b64 exec, exec, s[0:1]
	s_and_saveexec_b64 s[0:1], s[16:17]
	s_xor_b64 s[0:1], exec, s[0:1]
	s_cbranch_execnz .LBB6_531
.LBB6_157:
	s_or_b64 exec, exec, s[0:1]
	s_and_saveexec_b64 s[0:1], s[14:15]
	s_cbranch_execz .LBB6_159
.LBB6_158:
	global_load_dword v2, v[2:3], off offset:4
	s_waitcnt vmcnt(0)
	v_alignbit_b32 v2, v2, v12, 30
	v_and_b32_e32 v13, 7, v2
.LBB6_159:
	s_or_b64 exec, exec, s[0:1]
	v_bfe_u32 v2, v4, 20, 3
	v_sub_u32_e32 v3, s22, v13
	v_add_u32_e32 v2, v3, v2
	v_cvt_f32_i32_e32 v2, v2
	v_lshl_add_u64 v[0:1], s[12:13], 1, v[0:1]
	s_mov_b64 s[14:15], 0
	s_mov_b64 s[16:17], 0
	v_cvt_f16_f32_e32 v2, v2
                                        ; implicit-def: $vgpr13
	s_waitcnt vmcnt(1)
	v_mul_f16_e32 v2, v11, v2
	global_store_short v[0:1], v2, off
	s_load_dword s0, s[10:11], 0x74
	s_waitcnt lgkmcnt(0)
	s_mul_i32 s1, s0, s12
	s_mul_i32 s0, s26, s0
	v_add_u32_e32 v2, s1, v5
	s_ashr_i32 s1, s0, 31
	s_lshr_b32 s1, s1, 27
	v_ashrrev_i32_e32 v3, 31, v2
	s_add_i32 s0, s0, s1
	v_lshl_add_u64 v[2:3], v[2:3], 1, s[6:7]
	s_ashr_i32 s0, s0, 5
	global_load_ushort v11, v[2:3], off
	v_add_u32_e32 v2, s0, v9
	v_ashrrev_i32_e32 v3, 31, v2
	v_lshl_add_u64 v[2:3], v[2:3], 2, s[8:9]
	global_load_dword v12, v[2:3], off
	v_cmp_lt_i32_e64 s[0:1], 20, v10
	s_and_saveexec_b64 s[18:19], s[0:1]
	s_xor_b64 s[18:19], exec, s[18:19]
	s_cbranch_execnz .LBB6_540
; %bb.160:
	s_andn2_saveexec_b64 s[0:1], s[18:19]
	s_cbranch_execnz .LBB6_543
.LBB6_161:
	s_or_b64 exec, exec, s[0:1]
	s_and_saveexec_b64 s[0:1], s[16:17]
	s_xor_b64 s[0:1], exec, s[0:1]
	s_cbranch_execnz .LBB6_544
.LBB6_162:
	s_or_b64 exec, exec, s[0:1]
	s_and_saveexec_b64 s[0:1], s[14:15]
	s_cbranch_execz .LBB6_164
.LBB6_163:
	global_load_dword v2, v[2:3], off offset:4
	s_waitcnt vmcnt(0)
	v_alignbit_b32 v2, v2, v12, 30
	v_and_b32_e32 v13, 7, v2
.LBB6_164:
	s_or_b64 exec, exec, s[0:1]
	v_bfe_u32 v2, v4, 23, 3
	v_sub_u32_e32 v3, s22, v13
	v_add_u32_e32 v2, v3, v2
	v_cvt_f32_i32_e32 v2, v2
	v_lshl_add_u64 v[0:1], s[12:13], 1, v[0:1]
	s_mov_b64 s[14:15], 0
	s_mov_b64 s[16:17], 0
	v_cvt_f16_f32_e32 v2, v2
                                        ; implicit-def: $vgpr13
	s_waitcnt vmcnt(1)
	v_mul_f16_e32 v2, v11, v2
	global_store_short v[0:1], v2, off
	s_load_dword s0, s[10:11], 0x78
	s_waitcnt lgkmcnt(0)
	s_mul_i32 s1, s0, s12
	s_mul_i32 s0, s26, s0
	v_add_u32_e32 v2, s1, v5
	s_ashr_i32 s1, s0, 31
	s_lshr_b32 s1, s1, 27
	v_ashrrev_i32_e32 v3, 31, v2
	s_add_i32 s0, s0, s1
	v_lshl_add_u64 v[2:3], v[2:3], 1, s[6:7]
	s_ashr_i32 s0, s0, 5
	global_load_ushort v11, v[2:3], off
	v_add_u32_e32 v2, s0, v9
	v_ashrrev_i32_e32 v3, 31, v2
	v_lshl_add_u64 v[2:3], v[2:3], 2, s[8:9]
	global_load_dword v12, v[2:3], off
	v_cmp_lt_i32_e64 s[0:1], 20, v10
	s_and_saveexec_b64 s[18:19], s[0:1]
	s_xor_b64 s[18:19], exec, s[18:19]
	s_cbranch_execnz .LBB6_553
; %bb.165:
	s_andn2_saveexec_b64 s[0:1], s[18:19]
	s_cbranch_execnz .LBB6_556
.LBB6_166:
	s_or_b64 exec, exec, s[0:1]
	s_and_saveexec_b64 s[0:1], s[16:17]
	s_xor_b64 s[0:1], exec, s[0:1]
	s_cbranch_execnz .LBB6_557
.LBB6_167:
	s_or_b64 exec, exec, s[0:1]
	s_and_saveexec_b64 s[0:1], s[14:15]
	s_cbranch_execz .LBB6_169
.LBB6_168:
	global_load_dword v2, v[2:3], off offset:4
	s_waitcnt vmcnt(0)
	v_alignbit_b32 v2, v2, v12, 30
	v_and_b32_e32 v13, 7, v2
.LBB6_169:
	s_or_b64 exec, exec, s[0:1]
	v_bfe_u32 v2, v4, 26, 3
	v_sub_u32_e32 v3, s22, v13
	v_add_u32_e32 v2, v3, v2
	v_cvt_f32_i32_e32 v2, v2
	v_lshl_add_u64 v[0:1], s[12:13], 1, v[0:1]
	v_cvt_f16_f32_e32 v2, v2
	s_waitcnt vmcnt(1)
	v_mul_f16_e32 v2, v11, v2
	global_store_short v[0:1], v2, off
	s_load_dword s0, s[10:11], 0x7c
                                        ; implicit-def: $vgpr11
	s_waitcnt lgkmcnt(0)
	s_mul_i32 s1, s0, s12
	s_mul_i32 s0, s26, s0
	v_add_u32_e32 v2, s1, v5
	s_ashr_i32 s1, s0, 31
	s_lshr_b32 s1, s1, 27
	v_ashrrev_i32_e32 v3, 31, v2
	s_add_i32 s0, s0, s1
	v_lshl_add_u64 v[2:3], v[2:3], 1, s[6:7]
	s_ashr_i32 s0, s0, 5
	global_load_ushort v5, v[2:3], off
	v_add_u32_e32 v2, s0, v9
	v_ashrrev_i32_e32 v3, 31, v2
	v_lshl_add_u64 v[2:3], v[2:3], 2, s[8:9]
	global_load_dword v9, v[2:3], off
	v_cmp_lt_i32_e64 s[0:1], 20, v10
	s_mov_b64 s[6:7], 0
	s_mov_b64 s[8:9], 0
	s_and_saveexec_b64 s[10:11], s[0:1]
	s_xor_b64 s[10:11], exec, s[10:11]
	s_cbranch_execnz .LBB6_566
; %bb.170:
	s_andn2_saveexec_b64 s[0:1], s[10:11]
	s_cbranch_execnz .LBB6_569
.LBB6_171:
	s_or_b64 exec, exec, s[0:1]
	s_and_saveexec_b64 s[0:1], s[8:9]
	s_xor_b64 s[0:1], exec, s[0:1]
	s_cbranch_execnz .LBB6_570
.LBB6_172:
	s_or_b64 exec, exec, s[0:1]
	s_and_saveexec_b64 s[0:1], s[6:7]
	s_cbranch_execz .LBB6_174
.LBB6_173:
	global_load_dword v2, v[2:3], off offset:4
	s_waitcnt vmcnt(0)
	v_alignbit_b32 v2, v2, v9, 30
	v_and_b32_e32 v11, 7, v2
.LBB6_174:
	s_or_b64 exec, exec, s[0:1]
	v_lshrrev_b32_e32 v2, 29, v4
	v_sub_u32_e32 v3, s22, v11
	v_add_u32_e32 v2, v3, v2
	v_cvt_f32_i32_e32 v2, v2
	v_lshl_add_u64 v[0:1], s[12:13], 1, v[0:1]
	v_cvt_f16_f32_e32 v2, v2
	s_waitcnt vmcnt(1)
	v_mul_f16_e32 v2, v5, v2
	global_store_short v[0:1], v2, off
.LBB6_175:
	s_endpgm
.LBB6_176:
	v_cmp_eq_u32_e64 s[0:1], 21, v10
	s_mov_b64 s[16:17], -1
                                        ; implicit-def: $vgpr15
	s_and_saveexec_b64 s[20:21], s[0:1]
	s_cbranch_execz .LBB6_178
; %bb.177:
	global_load_dword v15, v[2:3], off offset:4
	s_xor_b64 s[16:17], exec, -1
	s_waitcnt vmcnt(0)
	v_alignbit_b32 v15, v15, v14, 31
	v_and_b32_e32 v15, 7, v15
.LBB6_178:
	s_or_b64 exec, exec, s[20:21]
	s_and_b64 s[16:17], s[16:17], exec
	s_andn2_saveexec_b64 s[0:1], s[18:19]
	s_cbranch_execz .LBB6_21
.LBB6_179:
	s_andn2_b64 s[16:17], s[16:17], exec
	s_and_b64 s[18:19], s[2:3], exec
	s_mov_b64 s[14:15], exec
	s_or_b64 s[16:17], s[16:17], s[18:19]
	s_or_b64 exec, exec, s[0:1]
	s_and_saveexec_b64 s[0:1], s[16:17]
	s_xor_b64 s[0:1], exec, s[0:1]
	s_cbranch_execz .LBB6_22
.LBB6_180:
                                        ; implicit-def: $vgpr15
	s_and_saveexec_b64 s[16:17], s[4:5]
	s_xor_b64 s[16:17], exec, s[16:17]
	s_cbranch_execz .LBB6_186
; %bb.181:
                                        ; implicit-def: $vgpr15
	s_and_saveexec_b64 s[18:19], vcc
	s_xor_b64 s[18:19], exec, s[18:19]
	s_cbranch_execz .LBB6_183
; %bb.182:
	s_waitcnt vmcnt(0)
	v_bfe_u32 v15, v14, v8, 3
.LBB6_183:
	s_andn2_saveexec_b64 s[18:19], s[18:19]
	s_cbranch_execz .LBB6_185
; %bb.184:
	s_waitcnt vmcnt(0)
	v_bfe_u32 v15, v14, v6, 3
.LBB6_185:
	s_or_b64 exec, exec, s[18:19]
.LBB6_186:
	s_andn2_saveexec_b64 s[16:17], s[16:17]
	s_cbranch_execz .LBB6_188
; %bb.187:
	s_waitcnt vmcnt(0)
	v_bfe_u32 v15, v14, v7, 3
.LBB6_188:
	s_or_b64 exec, exec, s[16:17]
	s_andn2_b64 s[14:15], s[14:15], exec
	s_or_b64 exec, exec, s[0:1]
	s_and_saveexec_b64 s[0:1], s[14:15]
	s_cbranch_execnz .LBB6_23
	s_branch .LBB6_24
.LBB6_189:
	v_cmp_eq_u32_e64 s[0:1], 21, v10
	s_mov_b64 s[16:17], -1
                                        ; implicit-def: $vgpr15
	s_and_saveexec_b64 s[20:21], s[0:1]
	s_cbranch_execz .LBB6_191
; %bb.190:
	global_load_dword v15, v[2:3], off offset:4
	s_xor_b64 s[16:17], exec, -1
	s_waitcnt vmcnt(0)
	v_alignbit_b32 v15, v15, v14, 31
	v_and_b32_e32 v15, 7, v15
.LBB6_191:
	s_or_b64 exec, exec, s[20:21]
	s_and_b64 s[16:17], s[16:17], exec
	s_andn2_saveexec_b64 s[0:1], s[18:19]
	s_cbranch_execz .LBB6_26
.LBB6_192:
	s_andn2_b64 s[16:17], s[16:17], exec
	s_and_b64 s[18:19], s[2:3], exec
	s_mov_b64 s[14:15], exec
	s_or_b64 s[16:17], s[16:17], s[18:19]
	s_or_b64 exec, exec, s[0:1]
	s_and_saveexec_b64 s[0:1], s[16:17]
	s_xor_b64 s[0:1], exec, s[0:1]
	s_cbranch_execz .LBB6_27
.LBB6_193:
                                        ; implicit-def: $vgpr15
	s_and_saveexec_b64 s[16:17], s[4:5]
	s_xor_b64 s[16:17], exec, s[16:17]
	s_cbranch_execz .LBB6_199
; %bb.194:
                                        ; implicit-def: $vgpr15
	s_and_saveexec_b64 s[18:19], vcc
	s_xor_b64 s[18:19], exec, s[18:19]
	s_cbranch_execz .LBB6_196
; %bb.195:
	s_waitcnt vmcnt(0)
	v_bfe_u32 v15, v14, v8, 3
.LBB6_196:
	s_andn2_saveexec_b64 s[18:19], s[18:19]
	s_cbranch_execz .LBB6_198
; %bb.197:
	s_waitcnt vmcnt(0)
	v_bfe_u32 v15, v14, v6, 3
.LBB6_198:
	s_or_b64 exec, exec, s[18:19]
.LBB6_199:
	s_andn2_saveexec_b64 s[16:17], s[16:17]
	s_cbranch_execz .LBB6_201
; %bb.200:
	s_waitcnt vmcnt(0)
	v_bfe_u32 v15, v14, v7, 3
.LBB6_201:
	s_or_b64 exec, exec, s[16:17]
	s_andn2_b64 s[14:15], s[14:15], exec
	s_or_b64 exec, exec, s[0:1]
	s_and_saveexec_b64 s[0:1], s[14:15]
	s_cbranch_execnz .LBB6_28
	s_branch .LBB6_29
.LBB6_202:
	v_cmp_eq_u32_e64 s[0:1], 21, v10
	s_mov_b64 s[16:17], -1
                                        ; implicit-def: $vgpr15
	s_and_saveexec_b64 s[20:21], s[0:1]
	s_cbranch_execz .LBB6_204
; %bb.203:
	global_load_dword v15, v[2:3], off offset:4
	s_xor_b64 s[16:17], exec, -1
	s_waitcnt vmcnt(0)
	v_alignbit_b32 v15, v15, v14, 31
	v_and_b32_e32 v15, 7, v15
.LBB6_204:
	s_or_b64 exec, exec, s[20:21]
	s_and_b64 s[16:17], s[16:17], exec
	s_andn2_saveexec_b64 s[0:1], s[18:19]
	s_cbranch_execz .LBB6_31
.LBB6_205:
	s_andn2_b64 s[16:17], s[16:17], exec
	s_and_b64 s[18:19], s[2:3], exec
	s_mov_b64 s[14:15], exec
	s_or_b64 s[16:17], s[16:17], s[18:19]
	s_or_b64 exec, exec, s[0:1]
	s_and_saveexec_b64 s[0:1], s[16:17]
	s_xor_b64 s[0:1], exec, s[0:1]
	s_cbranch_execz .LBB6_32
.LBB6_206:
                                        ; implicit-def: $vgpr15
	s_and_saveexec_b64 s[16:17], s[4:5]
	s_xor_b64 s[16:17], exec, s[16:17]
	s_cbranch_execz .LBB6_212
; %bb.207:
                                        ; implicit-def: $vgpr15
	s_and_saveexec_b64 s[18:19], vcc
	s_xor_b64 s[18:19], exec, s[18:19]
	s_cbranch_execz .LBB6_209
; %bb.208:
	s_waitcnt vmcnt(0)
	v_bfe_u32 v15, v14, v8, 3
.LBB6_209:
	s_andn2_saveexec_b64 s[18:19], s[18:19]
	s_cbranch_execz .LBB6_211
; %bb.210:
	s_waitcnt vmcnt(0)
	v_bfe_u32 v15, v14, v6, 3
.LBB6_211:
	s_or_b64 exec, exec, s[18:19]
.LBB6_212:
	s_andn2_saveexec_b64 s[16:17], s[16:17]
	s_cbranch_execz .LBB6_214
; %bb.213:
	s_waitcnt vmcnt(0)
	v_bfe_u32 v15, v14, v7, 3
.LBB6_214:
	s_or_b64 exec, exec, s[16:17]
	s_andn2_b64 s[14:15], s[14:15], exec
	s_or_b64 exec, exec, s[0:1]
	s_and_saveexec_b64 s[0:1], s[14:15]
	s_cbranch_execnz .LBB6_33
	s_branch .LBB6_34
.LBB6_215:
	v_cmp_eq_u32_e64 s[0:1], 21, v10
	s_mov_b64 s[16:17], -1
                                        ; implicit-def: $vgpr15
	s_and_saveexec_b64 s[20:21], s[0:1]
	s_cbranch_execz .LBB6_217
; %bb.216:
	global_load_dword v15, v[2:3], off offset:4
	s_xor_b64 s[16:17], exec, -1
	s_waitcnt vmcnt(0)
	v_alignbit_b32 v15, v15, v14, 31
	v_and_b32_e32 v15, 7, v15
.LBB6_217:
	s_or_b64 exec, exec, s[20:21]
	s_and_b64 s[16:17], s[16:17], exec
	s_andn2_saveexec_b64 s[0:1], s[18:19]
	s_cbranch_execz .LBB6_36
.LBB6_218:
	s_andn2_b64 s[16:17], s[16:17], exec
	s_and_b64 s[18:19], s[2:3], exec
	s_mov_b64 s[14:15], exec
	s_or_b64 s[16:17], s[16:17], s[18:19]
	s_or_b64 exec, exec, s[0:1]
	s_and_saveexec_b64 s[0:1], s[16:17]
	s_xor_b64 s[0:1], exec, s[0:1]
	s_cbranch_execz .LBB6_37
.LBB6_219:
                                        ; implicit-def: $vgpr15
	s_and_saveexec_b64 s[16:17], s[4:5]
	s_xor_b64 s[16:17], exec, s[16:17]
	s_cbranch_execz .LBB6_225
; %bb.220:
                                        ; implicit-def: $vgpr15
	s_and_saveexec_b64 s[18:19], vcc
	s_xor_b64 s[18:19], exec, s[18:19]
	s_cbranch_execz .LBB6_222
; %bb.221:
	s_waitcnt vmcnt(0)
	v_bfe_u32 v15, v14, v8, 3
.LBB6_222:
	s_andn2_saveexec_b64 s[18:19], s[18:19]
	s_cbranch_execz .LBB6_224
; %bb.223:
	s_waitcnt vmcnt(0)
	v_bfe_u32 v15, v14, v6, 3
.LBB6_224:
	s_or_b64 exec, exec, s[18:19]
.LBB6_225:
	s_andn2_saveexec_b64 s[16:17], s[16:17]
	s_cbranch_execz .LBB6_227
; %bb.226:
	s_waitcnt vmcnt(0)
	v_bfe_u32 v15, v14, v7, 3
.LBB6_227:
	s_or_b64 exec, exec, s[16:17]
	s_andn2_b64 s[14:15], s[14:15], exec
	s_or_b64 exec, exec, s[0:1]
	s_and_saveexec_b64 s[0:1], s[14:15]
	s_cbranch_execnz .LBB6_38
	s_branch .LBB6_39
.LBB6_228:
	v_cmp_eq_u32_e64 s[0:1], 21, v10
	s_mov_b64 s[16:17], -1
                                        ; implicit-def: $vgpr15
	s_and_saveexec_b64 s[20:21], s[0:1]
	s_cbranch_execz .LBB6_230
; %bb.229:
	global_load_dword v15, v[2:3], off offset:4
	s_xor_b64 s[16:17], exec, -1
	s_waitcnt vmcnt(0)
	v_alignbit_b32 v15, v15, v14, 31
	v_and_b32_e32 v15, 7, v15
.LBB6_230:
	s_or_b64 exec, exec, s[20:21]
	s_and_b64 s[16:17], s[16:17], exec
	s_andn2_saveexec_b64 s[0:1], s[18:19]
	s_cbranch_execz .LBB6_41
.LBB6_231:
	s_andn2_b64 s[16:17], s[16:17], exec
	s_and_b64 s[18:19], s[2:3], exec
	s_mov_b64 s[14:15], exec
	s_or_b64 s[16:17], s[16:17], s[18:19]
	s_or_b64 exec, exec, s[0:1]
	s_and_saveexec_b64 s[0:1], s[16:17]
	s_xor_b64 s[0:1], exec, s[0:1]
	s_cbranch_execz .LBB6_42
.LBB6_232:
                                        ; implicit-def: $vgpr15
	s_and_saveexec_b64 s[16:17], s[4:5]
	s_xor_b64 s[16:17], exec, s[16:17]
	s_cbranch_execz .LBB6_238
; %bb.233:
                                        ; implicit-def: $vgpr15
	s_and_saveexec_b64 s[18:19], vcc
	s_xor_b64 s[18:19], exec, s[18:19]
	s_cbranch_execz .LBB6_235
; %bb.234:
	s_waitcnt vmcnt(0)
	v_bfe_u32 v15, v14, v8, 3
.LBB6_235:
	s_andn2_saveexec_b64 s[18:19], s[18:19]
	s_cbranch_execz .LBB6_237
; %bb.236:
	s_waitcnt vmcnt(0)
	v_bfe_u32 v15, v14, v6, 3
.LBB6_237:
	s_or_b64 exec, exec, s[18:19]
.LBB6_238:
	s_andn2_saveexec_b64 s[16:17], s[16:17]
	s_cbranch_execz .LBB6_240
; %bb.239:
	s_waitcnt vmcnt(0)
	v_bfe_u32 v15, v14, v7, 3
.LBB6_240:
	s_or_b64 exec, exec, s[16:17]
	s_andn2_b64 s[14:15], s[14:15], exec
	s_or_b64 exec, exec, s[0:1]
	s_and_saveexec_b64 s[0:1], s[14:15]
	s_cbranch_execnz .LBB6_43
	s_branch .LBB6_44
.LBB6_241:
	v_cmp_eq_u32_e64 s[0:1], 21, v10
	s_mov_b64 s[16:17], -1
                                        ; implicit-def: $vgpr15
	s_and_saveexec_b64 s[20:21], s[0:1]
	s_cbranch_execz .LBB6_243
; %bb.242:
	global_load_dword v15, v[2:3], off offset:4
	s_xor_b64 s[16:17], exec, -1
	s_waitcnt vmcnt(0)
	v_alignbit_b32 v15, v15, v14, 31
	v_and_b32_e32 v15, 7, v15
.LBB6_243:
	s_or_b64 exec, exec, s[20:21]
	s_and_b64 s[16:17], s[16:17], exec
	s_andn2_saveexec_b64 s[0:1], s[18:19]
	s_cbranch_execz .LBB6_46
.LBB6_244:
	s_andn2_b64 s[16:17], s[16:17], exec
	s_and_b64 s[18:19], s[2:3], exec
	s_mov_b64 s[14:15], exec
	s_or_b64 s[16:17], s[16:17], s[18:19]
	s_or_b64 exec, exec, s[0:1]
	s_and_saveexec_b64 s[0:1], s[16:17]
	s_xor_b64 s[0:1], exec, s[0:1]
	s_cbranch_execz .LBB6_47
.LBB6_245:
                                        ; implicit-def: $vgpr15
	s_and_saveexec_b64 s[16:17], s[4:5]
	s_xor_b64 s[16:17], exec, s[16:17]
	s_cbranch_execz .LBB6_251
; %bb.246:
                                        ; implicit-def: $vgpr15
	s_and_saveexec_b64 s[18:19], vcc
	s_xor_b64 s[18:19], exec, s[18:19]
	s_cbranch_execz .LBB6_248
; %bb.247:
	s_waitcnt vmcnt(0)
	v_bfe_u32 v15, v14, v8, 3
.LBB6_248:
	s_andn2_saveexec_b64 s[18:19], s[18:19]
	s_cbranch_execz .LBB6_250
; %bb.249:
	s_waitcnt vmcnt(0)
	v_bfe_u32 v15, v14, v6, 3
.LBB6_250:
	s_or_b64 exec, exec, s[18:19]
.LBB6_251:
	s_andn2_saveexec_b64 s[16:17], s[16:17]
	s_cbranch_execz .LBB6_253
; %bb.252:
	s_waitcnt vmcnt(0)
	v_bfe_u32 v15, v14, v7, 3
.LBB6_253:
	s_or_b64 exec, exec, s[16:17]
	s_andn2_b64 s[14:15], s[14:15], exec
	s_or_b64 exec, exec, s[0:1]
	s_and_saveexec_b64 s[0:1], s[14:15]
	s_cbranch_execnz .LBB6_48
	s_branch .LBB6_49
.LBB6_254:
	v_cmp_eq_u32_e64 s[0:1], 21, v10
	s_mov_b64 s[16:17], -1
                                        ; implicit-def: $vgpr15
	s_and_saveexec_b64 s[20:21], s[0:1]
	s_cbranch_execz .LBB6_256
; %bb.255:
	global_load_dword v15, v[2:3], off offset:4
	s_xor_b64 s[16:17], exec, -1
	s_waitcnt vmcnt(0)
	v_alignbit_b32 v15, v15, v14, 31
	v_and_b32_e32 v15, 7, v15
.LBB6_256:
	s_or_b64 exec, exec, s[20:21]
	s_and_b64 s[16:17], s[16:17], exec
	s_andn2_saveexec_b64 s[0:1], s[18:19]
	s_cbranch_execz .LBB6_51
.LBB6_257:
	s_andn2_b64 s[16:17], s[16:17], exec
	s_and_b64 s[18:19], s[2:3], exec
	s_mov_b64 s[14:15], exec
	s_or_b64 s[16:17], s[16:17], s[18:19]
	s_or_b64 exec, exec, s[0:1]
	s_and_saveexec_b64 s[0:1], s[16:17]
	s_xor_b64 s[0:1], exec, s[0:1]
	s_cbranch_execz .LBB6_52
.LBB6_258:
                                        ; implicit-def: $vgpr15
	s_and_saveexec_b64 s[16:17], s[4:5]
	s_xor_b64 s[16:17], exec, s[16:17]
	s_cbranch_execz .LBB6_264
; %bb.259:
                                        ; implicit-def: $vgpr15
	s_and_saveexec_b64 s[18:19], vcc
	s_xor_b64 s[18:19], exec, s[18:19]
	s_cbranch_execz .LBB6_261
; %bb.260:
	s_waitcnt vmcnt(0)
	v_bfe_u32 v15, v14, v8, 3
.LBB6_261:
	s_andn2_saveexec_b64 s[18:19], s[18:19]
	s_cbranch_execz .LBB6_263
; %bb.262:
	s_waitcnt vmcnt(0)
	v_bfe_u32 v15, v14, v6, 3
.LBB6_263:
	s_or_b64 exec, exec, s[18:19]
.LBB6_264:
	s_andn2_saveexec_b64 s[16:17], s[16:17]
	s_cbranch_execz .LBB6_266
; %bb.265:
	s_waitcnt vmcnt(0)
	v_bfe_u32 v15, v14, v7, 3
.LBB6_266:
	s_or_b64 exec, exec, s[16:17]
	s_andn2_b64 s[14:15], s[14:15], exec
	s_or_b64 exec, exec, s[0:1]
	s_and_saveexec_b64 s[0:1], s[14:15]
	s_cbranch_execnz .LBB6_53
	s_branch .LBB6_54
.LBB6_267:
	v_cmp_eq_u32_e64 s[0:1], 21, v10
	s_mov_b64 s[16:17], -1
                                        ; implicit-def: $vgpr15
	s_and_saveexec_b64 s[20:21], s[0:1]
	s_cbranch_execz .LBB6_269
; %bb.268:
	global_load_dword v15, v[2:3], off offset:4
	s_xor_b64 s[16:17], exec, -1
	s_waitcnt vmcnt(0)
	v_alignbit_b32 v15, v15, v14, 31
	v_and_b32_e32 v15, 7, v15
.LBB6_269:
	s_or_b64 exec, exec, s[20:21]
	s_and_b64 s[16:17], s[16:17], exec
	s_andn2_saveexec_b64 s[0:1], s[18:19]
	s_cbranch_execz .LBB6_56
.LBB6_270:
	s_andn2_b64 s[16:17], s[16:17], exec
	s_and_b64 s[18:19], s[2:3], exec
	s_mov_b64 s[14:15], exec
	s_or_b64 s[16:17], s[16:17], s[18:19]
	s_or_b64 exec, exec, s[0:1]
	s_and_saveexec_b64 s[0:1], s[16:17]
	s_xor_b64 s[0:1], exec, s[0:1]
	s_cbranch_execz .LBB6_57
.LBB6_271:
                                        ; implicit-def: $vgpr15
	s_and_saveexec_b64 s[16:17], s[4:5]
	s_xor_b64 s[16:17], exec, s[16:17]
	s_cbranch_execz .LBB6_277
; %bb.272:
                                        ; implicit-def: $vgpr15
	s_and_saveexec_b64 s[18:19], vcc
	s_xor_b64 s[18:19], exec, s[18:19]
	s_cbranch_execz .LBB6_274
; %bb.273:
	s_waitcnt vmcnt(0)
	v_bfe_u32 v15, v14, v8, 3
.LBB6_274:
	s_andn2_saveexec_b64 s[18:19], s[18:19]
	s_cbranch_execz .LBB6_276
; %bb.275:
	s_waitcnt vmcnt(0)
	v_bfe_u32 v15, v14, v6, 3
.LBB6_276:
	s_or_b64 exec, exec, s[18:19]
.LBB6_277:
	s_andn2_saveexec_b64 s[16:17], s[16:17]
	s_cbranch_execz .LBB6_279
; %bb.278:
	s_waitcnt vmcnt(0)
	v_bfe_u32 v15, v14, v7, 3
.LBB6_279:
	s_or_b64 exec, exec, s[16:17]
	s_andn2_b64 s[14:15], s[14:15], exec
	s_or_b64 exec, exec, s[0:1]
	s_and_saveexec_b64 s[0:1], s[14:15]
	s_cbranch_execnz .LBB6_58
	s_branch .LBB6_59
.LBB6_280:
	v_cmp_eq_u32_e64 s[0:1], 21, v10
	s_mov_b64 s[16:17], -1
                                        ; implicit-def: $vgpr15
	s_and_saveexec_b64 s[20:21], s[0:1]
	s_cbranch_execz .LBB6_282
; %bb.281:
	global_load_dword v15, v[2:3], off offset:4
	s_xor_b64 s[16:17], exec, -1
	s_waitcnt vmcnt(0)
	v_alignbit_b32 v15, v15, v14, 31
	v_and_b32_e32 v15, 7, v15
.LBB6_282:
	s_or_b64 exec, exec, s[20:21]
	s_and_b64 s[16:17], s[16:17], exec
	s_andn2_saveexec_b64 s[0:1], s[18:19]
	s_cbranch_execz .LBB6_61
.LBB6_283:
	s_andn2_b64 s[16:17], s[16:17], exec
	s_and_b64 s[18:19], s[2:3], exec
	s_mov_b64 s[14:15], exec
	s_or_b64 s[16:17], s[16:17], s[18:19]
	s_or_b64 exec, exec, s[0:1]
	s_and_saveexec_b64 s[0:1], s[16:17]
	s_xor_b64 s[0:1], exec, s[0:1]
	s_cbranch_execz .LBB6_62
.LBB6_284:
                                        ; implicit-def: $vgpr15
	s_and_saveexec_b64 s[16:17], s[4:5]
	s_xor_b64 s[16:17], exec, s[16:17]
	s_cbranch_execz .LBB6_290
; %bb.285:
                                        ; implicit-def: $vgpr15
	s_and_saveexec_b64 s[18:19], vcc
	s_xor_b64 s[18:19], exec, s[18:19]
	s_cbranch_execz .LBB6_287
; %bb.286:
	s_waitcnt vmcnt(0)
	v_bfe_u32 v15, v14, v8, 3
.LBB6_287:
	s_andn2_saveexec_b64 s[18:19], s[18:19]
	s_cbranch_execz .LBB6_289
; %bb.288:
	s_waitcnt vmcnt(0)
	v_bfe_u32 v15, v14, v6, 3
.LBB6_289:
	s_or_b64 exec, exec, s[18:19]
.LBB6_290:
	s_andn2_saveexec_b64 s[16:17], s[16:17]
	s_cbranch_execz .LBB6_292
; %bb.291:
	s_waitcnt vmcnt(0)
	v_bfe_u32 v15, v14, v7, 3
.LBB6_292:
	s_or_b64 exec, exec, s[16:17]
	s_andn2_b64 s[14:15], s[14:15], exec
	s_or_b64 exec, exec, s[0:1]
	s_and_saveexec_b64 s[0:1], s[14:15]
	s_cbranch_execnz .LBB6_63
	s_branch .LBB6_64
.LBB6_293:
	v_cmp_eq_u32_e64 s[0:1], 21, v10
	s_mov_b64 s[16:17], -1
                                        ; implicit-def: $vgpr15
	s_and_saveexec_b64 s[20:21], s[0:1]
	s_cbranch_execz .LBB6_295
; %bb.294:
	global_load_dword v15, v[2:3], off offset:4
	s_xor_b64 s[16:17], exec, -1
	s_waitcnt vmcnt(0)
	v_alignbit_b32 v15, v15, v14, 31
	v_and_b32_e32 v15, 7, v15
.LBB6_295:
	s_or_b64 exec, exec, s[20:21]
	s_and_b64 s[16:17], s[16:17], exec
	s_andn2_saveexec_b64 s[0:1], s[18:19]
	s_cbranch_execz .LBB6_66
.LBB6_296:
	s_andn2_b64 s[16:17], s[16:17], exec
	s_and_b64 s[18:19], s[2:3], exec
	s_mov_b64 s[14:15], exec
	s_or_b64 s[16:17], s[16:17], s[18:19]
	s_or_b64 exec, exec, s[0:1]
	s_and_saveexec_b64 s[0:1], s[16:17]
	s_xor_b64 s[0:1], exec, s[0:1]
	s_cbranch_execz .LBB6_67
.LBB6_297:
                                        ; implicit-def: $vgpr15
	s_and_saveexec_b64 s[16:17], s[4:5]
	s_xor_b64 s[16:17], exec, s[16:17]
	s_cbranch_execz .LBB6_303
; %bb.298:
                                        ; implicit-def: $vgpr15
	s_and_saveexec_b64 s[18:19], vcc
	s_xor_b64 s[18:19], exec, s[18:19]
	s_cbranch_execz .LBB6_300
; %bb.299:
	s_waitcnt vmcnt(0)
	v_bfe_u32 v15, v14, v8, 3
.LBB6_300:
	s_andn2_saveexec_b64 s[18:19], s[18:19]
	s_cbranch_execz .LBB6_302
; %bb.301:
	s_waitcnt vmcnt(0)
	v_bfe_u32 v15, v14, v6, 3
.LBB6_302:
	s_or_b64 exec, exec, s[18:19]
.LBB6_303:
	s_andn2_saveexec_b64 s[16:17], s[16:17]
	s_cbranch_execz .LBB6_305
; %bb.304:
	s_waitcnt vmcnt(0)
	v_bfe_u32 v15, v14, v7, 3
.LBB6_305:
	s_or_b64 exec, exec, s[16:17]
	s_andn2_b64 s[14:15], s[14:15], exec
	s_or_b64 exec, exec, s[0:1]
	s_and_saveexec_b64 s[0:1], s[14:15]
	s_cbranch_execnz .LBB6_68
	s_branch .LBB6_69
.LBB6_306:
	v_cmp_eq_u32_e64 s[0:1], 21, v10
	s_mov_b64 s[16:17], -1
                                        ; implicit-def: $vgpr14
	s_and_saveexec_b64 s[20:21], s[0:1]
	s_cbranch_execz .LBB6_308
; %bb.307:
	global_load_dword v14, v[2:3], off offset:4
	s_xor_b64 s[16:17], exec, -1
	s_waitcnt vmcnt(0)
	v_alignbit_b32 v14, v14, v13, 31
	v_and_b32_e32 v14, 7, v14
.LBB6_308:
	s_or_b64 exec, exec, s[20:21]
	s_and_b64 s[16:17], s[16:17], exec
	s_andn2_saveexec_b64 s[0:1], s[18:19]
	s_cbranch_execz .LBB6_71
.LBB6_309:
	s_andn2_b64 s[16:17], s[16:17], exec
	s_and_b64 s[18:19], s[2:3], exec
	s_mov_b64 s[14:15], exec
	s_or_b64 s[16:17], s[16:17], s[18:19]
	s_or_b64 exec, exec, s[0:1]
	s_and_saveexec_b64 s[0:1], s[16:17]
	s_xor_b64 s[0:1], exec, s[0:1]
	s_cbranch_execz .LBB6_72
.LBB6_310:
                                        ; implicit-def: $vgpr14
	s_and_saveexec_b64 s[16:17], s[4:5]
	s_xor_b64 s[16:17], exec, s[16:17]
	s_cbranch_execz .LBB6_316
; %bb.311:
                                        ; implicit-def: $vgpr14
	s_and_saveexec_b64 s[18:19], vcc
	s_xor_b64 s[18:19], exec, s[18:19]
	s_cbranch_execz .LBB6_313
; %bb.312:
	s_waitcnt vmcnt(0)
	v_bfe_u32 v14, v13, v8, 3
.LBB6_313:
	s_andn2_saveexec_b64 s[18:19], s[18:19]
	s_cbranch_execz .LBB6_315
; %bb.314:
	s_waitcnt vmcnt(0)
	v_bfe_u32 v14, v13, v6, 3
.LBB6_315:
	s_or_b64 exec, exec, s[18:19]
.LBB6_316:
	s_andn2_saveexec_b64 s[16:17], s[16:17]
	s_cbranch_execz .LBB6_318
; %bb.317:
	s_waitcnt vmcnt(0)
	v_bfe_u32 v14, v13, v7, 3
.LBB6_318:
	s_or_b64 exec, exec, s[16:17]
	s_andn2_b64 s[14:15], s[14:15], exec
	s_or_b64 exec, exec, s[0:1]
	s_and_saveexec_b64 s[0:1], s[14:15]
	s_cbranch_execnz .LBB6_73
	s_branch .LBB6_74
.LBB6_319:
	v_cmp_eq_u32_e64 s[0:1], 21, v10
	s_mov_b64 s[16:17], -1
                                        ; implicit-def: $vgpr14
	s_and_saveexec_b64 s[20:21], s[0:1]
	s_cbranch_execz .LBB6_321
; %bb.320:
	global_load_dword v14, v[2:3], off offset:4
	s_xor_b64 s[16:17], exec, -1
	s_waitcnt vmcnt(0)
	v_alignbit_b32 v14, v14, v13, 31
	v_and_b32_e32 v14, 7, v14
.LBB6_321:
	s_or_b64 exec, exec, s[20:21]
	s_and_b64 s[16:17], s[16:17], exec
	s_andn2_saveexec_b64 s[0:1], s[18:19]
	s_cbranch_execz .LBB6_76
.LBB6_322:
	s_andn2_b64 s[16:17], s[16:17], exec
	s_and_b64 s[18:19], s[2:3], exec
	s_mov_b64 s[14:15], exec
	s_or_b64 s[16:17], s[16:17], s[18:19]
	s_or_b64 exec, exec, s[0:1]
	s_and_saveexec_b64 s[0:1], s[16:17]
	s_xor_b64 s[0:1], exec, s[0:1]
	s_cbranch_execz .LBB6_77
.LBB6_323:
                                        ; implicit-def: $vgpr14
	s_and_saveexec_b64 s[16:17], s[4:5]
	s_xor_b64 s[16:17], exec, s[16:17]
	s_cbranch_execz .LBB6_329
; %bb.324:
                                        ; implicit-def: $vgpr14
	s_and_saveexec_b64 s[18:19], vcc
	s_xor_b64 s[18:19], exec, s[18:19]
	s_cbranch_execz .LBB6_326
; %bb.325:
	s_waitcnt vmcnt(0)
	v_bfe_u32 v14, v13, v8, 3
.LBB6_326:
	s_andn2_saveexec_b64 s[18:19], s[18:19]
	s_cbranch_execz .LBB6_328
; %bb.327:
	s_waitcnt vmcnt(0)
	v_bfe_u32 v14, v13, v6, 3
.LBB6_328:
	s_or_b64 exec, exec, s[18:19]
.LBB6_329:
	s_andn2_saveexec_b64 s[16:17], s[16:17]
	s_cbranch_execz .LBB6_331
; %bb.330:
	s_waitcnt vmcnt(0)
	v_bfe_u32 v14, v13, v7, 3
.LBB6_331:
	s_or_b64 exec, exec, s[16:17]
	s_andn2_b64 s[14:15], s[14:15], exec
	s_or_b64 exec, exec, s[0:1]
	s_and_saveexec_b64 s[0:1], s[14:15]
	s_cbranch_execnz .LBB6_78
	s_branch .LBB6_79
.LBB6_332:
	v_cmp_eq_u32_e64 s[0:1], 21, v10
	s_mov_b64 s[16:17], -1
                                        ; implicit-def: $vgpr14
	s_and_saveexec_b64 s[20:21], s[0:1]
	s_cbranch_execz .LBB6_334
; %bb.333:
	global_load_dword v14, v[2:3], off offset:4
	s_xor_b64 s[16:17], exec, -1
	s_waitcnt vmcnt(0)
	v_alignbit_b32 v14, v14, v13, 31
	v_and_b32_e32 v14, 7, v14
.LBB6_334:
	s_or_b64 exec, exec, s[20:21]
	s_and_b64 s[16:17], s[16:17], exec
	s_andn2_saveexec_b64 s[0:1], s[18:19]
	s_cbranch_execz .LBB6_81
.LBB6_335:
	s_andn2_b64 s[16:17], s[16:17], exec
	s_and_b64 s[18:19], s[2:3], exec
	s_mov_b64 s[14:15], exec
	s_or_b64 s[16:17], s[16:17], s[18:19]
	s_or_b64 exec, exec, s[0:1]
	s_and_saveexec_b64 s[0:1], s[16:17]
	s_xor_b64 s[0:1], exec, s[0:1]
	s_cbranch_execz .LBB6_82
.LBB6_336:
                                        ; implicit-def: $vgpr14
	s_and_saveexec_b64 s[16:17], s[4:5]
	s_xor_b64 s[16:17], exec, s[16:17]
	s_cbranch_execz .LBB6_342
; %bb.337:
                                        ; implicit-def: $vgpr14
	s_and_saveexec_b64 s[18:19], vcc
	s_xor_b64 s[18:19], exec, s[18:19]
	s_cbranch_execz .LBB6_339
; %bb.338:
	s_waitcnt vmcnt(0)
	v_bfe_u32 v14, v13, v8, 3
.LBB6_339:
	s_andn2_saveexec_b64 s[18:19], s[18:19]
	s_cbranch_execz .LBB6_341
; %bb.340:
	s_waitcnt vmcnt(0)
	v_bfe_u32 v14, v13, v6, 3
.LBB6_341:
	s_or_b64 exec, exec, s[18:19]
.LBB6_342:
	s_andn2_saveexec_b64 s[16:17], s[16:17]
	s_cbranch_execz .LBB6_344
; %bb.343:
	s_waitcnt vmcnt(0)
	v_bfe_u32 v14, v13, v7, 3
.LBB6_344:
	s_or_b64 exec, exec, s[16:17]
	s_andn2_b64 s[14:15], s[14:15], exec
	s_or_b64 exec, exec, s[0:1]
	s_and_saveexec_b64 s[0:1], s[14:15]
	s_cbranch_execnz .LBB6_83
	s_branch .LBB6_84
.LBB6_345:
	v_cmp_eq_u32_e64 s[0:1], 21, v10
	s_mov_b64 s[16:17], -1
                                        ; implicit-def: $vgpr14
	s_and_saveexec_b64 s[20:21], s[0:1]
	s_cbranch_execz .LBB6_347
; %bb.346:
	global_load_dword v14, v[2:3], off offset:4
	s_xor_b64 s[16:17], exec, -1
	s_waitcnt vmcnt(0)
	v_alignbit_b32 v14, v14, v13, 31
	v_and_b32_e32 v14, 7, v14
.LBB6_347:
	s_or_b64 exec, exec, s[20:21]
	s_and_b64 s[16:17], s[16:17], exec
	s_andn2_saveexec_b64 s[0:1], s[18:19]
	s_cbranch_execz .LBB6_86
.LBB6_348:
	s_andn2_b64 s[16:17], s[16:17], exec
	s_and_b64 s[18:19], s[2:3], exec
	s_mov_b64 s[14:15], exec
	s_or_b64 s[16:17], s[16:17], s[18:19]
	s_or_b64 exec, exec, s[0:1]
	s_and_saveexec_b64 s[0:1], s[16:17]
	s_xor_b64 s[0:1], exec, s[0:1]
	s_cbranch_execz .LBB6_87
.LBB6_349:
                                        ; implicit-def: $vgpr14
	s_and_saveexec_b64 s[16:17], s[4:5]
	s_xor_b64 s[16:17], exec, s[16:17]
	s_cbranch_execz .LBB6_355
; %bb.350:
                                        ; implicit-def: $vgpr14
	s_and_saveexec_b64 s[18:19], vcc
	s_xor_b64 s[18:19], exec, s[18:19]
	s_cbranch_execz .LBB6_352
; %bb.351:
	s_waitcnt vmcnt(0)
	v_bfe_u32 v14, v13, v8, 3
.LBB6_352:
	s_andn2_saveexec_b64 s[18:19], s[18:19]
	s_cbranch_execz .LBB6_354
; %bb.353:
	s_waitcnt vmcnt(0)
	v_bfe_u32 v14, v13, v6, 3
.LBB6_354:
	s_or_b64 exec, exec, s[18:19]
.LBB6_355:
	s_andn2_saveexec_b64 s[16:17], s[16:17]
	s_cbranch_execz .LBB6_357
; %bb.356:
	s_waitcnt vmcnt(0)
	v_bfe_u32 v14, v13, v7, 3
.LBB6_357:
	s_or_b64 exec, exec, s[16:17]
	s_andn2_b64 s[14:15], s[14:15], exec
	s_or_b64 exec, exec, s[0:1]
	s_and_saveexec_b64 s[0:1], s[14:15]
	s_cbranch_execnz .LBB6_88
	s_branch .LBB6_89
.LBB6_358:
	v_cmp_eq_u32_e64 s[0:1], 21, v10
	s_mov_b64 s[16:17], -1
                                        ; implicit-def: $vgpr14
	s_and_saveexec_b64 s[20:21], s[0:1]
	s_cbranch_execz .LBB6_360
; %bb.359:
	global_load_dword v14, v[2:3], off offset:4
	s_xor_b64 s[16:17], exec, -1
	s_waitcnt vmcnt(0)
	v_alignbit_b32 v14, v14, v13, 31
	v_and_b32_e32 v14, 7, v14
.LBB6_360:
	s_or_b64 exec, exec, s[20:21]
	s_and_b64 s[16:17], s[16:17], exec
	s_andn2_saveexec_b64 s[0:1], s[18:19]
	s_cbranch_execz .LBB6_91
.LBB6_361:
	s_andn2_b64 s[16:17], s[16:17], exec
	s_and_b64 s[18:19], s[2:3], exec
	s_mov_b64 s[14:15], exec
	s_or_b64 s[16:17], s[16:17], s[18:19]
	s_or_b64 exec, exec, s[0:1]
	s_and_saveexec_b64 s[0:1], s[16:17]
	s_xor_b64 s[0:1], exec, s[0:1]
	s_cbranch_execz .LBB6_92
.LBB6_362:
                                        ; implicit-def: $vgpr14
	s_and_saveexec_b64 s[16:17], s[4:5]
	s_xor_b64 s[16:17], exec, s[16:17]
	s_cbranch_execz .LBB6_368
; %bb.363:
                                        ; implicit-def: $vgpr14
	s_and_saveexec_b64 s[18:19], vcc
	s_xor_b64 s[18:19], exec, s[18:19]
	s_cbranch_execz .LBB6_365
; %bb.364:
	s_waitcnt vmcnt(0)
	v_bfe_u32 v14, v13, v8, 3
.LBB6_365:
	s_andn2_saveexec_b64 s[18:19], s[18:19]
	s_cbranch_execz .LBB6_367
; %bb.366:
	s_waitcnt vmcnt(0)
	v_bfe_u32 v14, v13, v6, 3
.LBB6_367:
	s_or_b64 exec, exec, s[18:19]
.LBB6_368:
	s_andn2_saveexec_b64 s[16:17], s[16:17]
	s_cbranch_execz .LBB6_370
; %bb.369:
	s_waitcnt vmcnt(0)
	v_bfe_u32 v14, v13, v7, 3
.LBB6_370:
	s_or_b64 exec, exec, s[16:17]
	s_andn2_b64 s[14:15], s[14:15], exec
	s_or_b64 exec, exec, s[0:1]
	s_and_saveexec_b64 s[0:1], s[14:15]
	s_cbranch_execnz .LBB6_93
	s_branch .LBB6_94
.LBB6_371:
	v_cmp_eq_u32_e64 s[0:1], 21, v10
	s_mov_b64 s[16:17], -1
                                        ; implicit-def: $vgpr14
	s_and_saveexec_b64 s[20:21], s[0:1]
	s_cbranch_execz .LBB6_373
; %bb.372:
	global_load_dword v14, v[2:3], off offset:4
	s_xor_b64 s[16:17], exec, -1
	s_waitcnt vmcnt(0)
	v_alignbit_b32 v14, v14, v13, 31
	v_and_b32_e32 v14, 7, v14
.LBB6_373:
	s_or_b64 exec, exec, s[20:21]
	s_and_b64 s[16:17], s[16:17], exec
	s_andn2_saveexec_b64 s[0:1], s[18:19]
	s_cbranch_execz .LBB6_96
.LBB6_374:
	s_andn2_b64 s[16:17], s[16:17], exec
	s_and_b64 s[18:19], s[2:3], exec
	s_mov_b64 s[14:15], exec
	s_or_b64 s[16:17], s[16:17], s[18:19]
	s_or_b64 exec, exec, s[0:1]
	s_and_saveexec_b64 s[0:1], s[16:17]
	s_xor_b64 s[0:1], exec, s[0:1]
	s_cbranch_execz .LBB6_97
.LBB6_375:
                                        ; implicit-def: $vgpr14
	s_and_saveexec_b64 s[16:17], s[4:5]
	s_xor_b64 s[16:17], exec, s[16:17]
	s_cbranch_execz .LBB6_381
; %bb.376:
                                        ; implicit-def: $vgpr14
	s_and_saveexec_b64 s[18:19], vcc
	s_xor_b64 s[18:19], exec, s[18:19]
	s_cbranch_execz .LBB6_378
; %bb.377:
	s_waitcnt vmcnt(0)
	v_bfe_u32 v14, v13, v8, 3
.LBB6_378:
	s_andn2_saveexec_b64 s[18:19], s[18:19]
	s_cbranch_execz .LBB6_380
; %bb.379:
	s_waitcnt vmcnt(0)
	v_bfe_u32 v14, v13, v6, 3
.LBB6_380:
	s_or_b64 exec, exec, s[18:19]
.LBB6_381:
	s_andn2_saveexec_b64 s[16:17], s[16:17]
	s_cbranch_execz .LBB6_383
; %bb.382:
	s_waitcnt vmcnt(0)
	v_bfe_u32 v14, v13, v7, 3
.LBB6_383:
	s_or_b64 exec, exec, s[16:17]
	s_andn2_b64 s[14:15], s[14:15], exec
	s_or_b64 exec, exec, s[0:1]
	s_and_saveexec_b64 s[0:1], s[14:15]
	s_cbranch_execnz .LBB6_98
	s_branch .LBB6_99
.LBB6_384:
	v_cmp_eq_u32_e64 s[0:1], 21, v10
	s_mov_b64 s[16:17], -1
                                        ; implicit-def: $vgpr14
	s_and_saveexec_b64 s[20:21], s[0:1]
	s_cbranch_execz .LBB6_386
; %bb.385:
	global_load_dword v14, v[2:3], off offset:4
	s_xor_b64 s[16:17], exec, -1
	s_waitcnt vmcnt(0)
	v_alignbit_b32 v14, v14, v13, 31
	v_and_b32_e32 v14, 7, v14
.LBB6_386:
	s_or_b64 exec, exec, s[20:21]
	s_and_b64 s[16:17], s[16:17], exec
	s_andn2_saveexec_b64 s[0:1], s[18:19]
	s_cbranch_execz .LBB6_101
.LBB6_387:
	s_andn2_b64 s[16:17], s[16:17], exec
	s_and_b64 s[18:19], s[2:3], exec
	s_mov_b64 s[14:15], exec
	s_or_b64 s[16:17], s[16:17], s[18:19]
	s_or_b64 exec, exec, s[0:1]
	s_and_saveexec_b64 s[0:1], s[16:17]
	s_xor_b64 s[0:1], exec, s[0:1]
	s_cbranch_execz .LBB6_102
.LBB6_388:
                                        ; implicit-def: $vgpr14
	s_and_saveexec_b64 s[16:17], s[4:5]
	s_xor_b64 s[16:17], exec, s[16:17]
	s_cbranch_execz .LBB6_394
; %bb.389:
                                        ; implicit-def: $vgpr14
	s_and_saveexec_b64 s[18:19], vcc
	s_xor_b64 s[18:19], exec, s[18:19]
	s_cbranch_execz .LBB6_391
; %bb.390:
	s_waitcnt vmcnt(0)
	v_bfe_u32 v14, v13, v8, 3
.LBB6_391:
	s_andn2_saveexec_b64 s[18:19], s[18:19]
	s_cbranch_execz .LBB6_393
; %bb.392:
	s_waitcnt vmcnt(0)
	v_bfe_u32 v14, v13, v6, 3
.LBB6_393:
	s_or_b64 exec, exec, s[18:19]
.LBB6_394:
	s_andn2_saveexec_b64 s[16:17], s[16:17]
	s_cbranch_execz .LBB6_396
; %bb.395:
	s_waitcnt vmcnt(0)
	v_bfe_u32 v14, v13, v7, 3
.LBB6_396:
	s_or_b64 exec, exec, s[16:17]
	s_andn2_b64 s[14:15], s[14:15], exec
	s_or_b64 exec, exec, s[0:1]
	s_and_saveexec_b64 s[0:1], s[14:15]
	s_cbranch_execnz .LBB6_103
	s_branch .LBB6_104
.LBB6_397:
	v_cmp_eq_u32_e64 s[0:1], 21, v10
	s_mov_b64 s[16:17], -1
                                        ; implicit-def: $vgpr14
	s_and_saveexec_b64 s[20:21], s[0:1]
	s_cbranch_execz .LBB6_399
; %bb.398:
	global_load_dword v14, v[2:3], off offset:4
	s_xor_b64 s[16:17], exec, -1
	s_waitcnt vmcnt(0)
	v_alignbit_b32 v14, v14, v13, 31
	v_and_b32_e32 v14, 7, v14
.LBB6_399:
	s_or_b64 exec, exec, s[20:21]
	s_and_b64 s[16:17], s[16:17], exec
	s_andn2_saveexec_b64 s[0:1], s[18:19]
	s_cbranch_execz .LBB6_106
.LBB6_400:
	s_andn2_b64 s[16:17], s[16:17], exec
	s_and_b64 s[18:19], s[2:3], exec
	s_mov_b64 s[14:15], exec
	s_or_b64 s[16:17], s[16:17], s[18:19]
	s_or_b64 exec, exec, s[0:1]
	s_and_saveexec_b64 s[0:1], s[16:17]
	s_xor_b64 s[0:1], exec, s[0:1]
	s_cbranch_execz .LBB6_107
.LBB6_401:
                                        ; implicit-def: $vgpr14
	s_and_saveexec_b64 s[16:17], s[4:5]
	s_xor_b64 s[16:17], exec, s[16:17]
	s_cbranch_execz .LBB6_407
; %bb.402:
                                        ; implicit-def: $vgpr14
	s_and_saveexec_b64 s[18:19], vcc
	s_xor_b64 s[18:19], exec, s[18:19]
	s_cbranch_execz .LBB6_404
; %bb.403:
	s_waitcnt vmcnt(0)
	v_bfe_u32 v14, v13, v8, 3
.LBB6_404:
	s_andn2_saveexec_b64 s[18:19], s[18:19]
	s_cbranch_execz .LBB6_406
; %bb.405:
	s_waitcnt vmcnt(0)
	v_bfe_u32 v14, v13, v6, 3
.LBB6_406:
	s_or_b64 exec, exec, s[18:19]
.LBB6_407:
	s_andn2_saveexec_b64 s[16:17], s[16:17]
	s_cbranch_execz .LBB6_409
; %bb.408:
	s_waitcnt vmcnt(0)
	v_bfe_u32 v14, v13, v7, 3
.LBB6_409:
	s_or_b64 exec, exec, s[16:17]
	s_andn2_b64 s[14:15], s[14:15], exec
	s_or_b64 exec, exec, s[0:1]
	s_and_saveexec_b64 s[0:1], s[14:15]
	s_cbranch_execnz .LBB6_108
	s_branch .LBB6_109
.LBB6_410:
	v_cmp_eq_u32_e64 s[0:1], 21, v10
	s_mov_b64 s[16:17], -1
                                        ; implicit-def: $vgpr14
	s_and_saveexec_b64 s[20:21], s[0:1]
	s_cbranch_execz .LBB6_412
; %bb.411:
	global_load_dword v14, v[2:3], off offset:4
	s_xor_b64 s[16:17], exec, -1
	s_waitcnt vmcnt(0)
	v_alignbit_b32 v14, v14, v13, 31
	v_and_b32_e32 v14, 7, v14
.LBB6_412:
	s_or_b64 exec, exec, s[20:21]
	s_and_b64 s[16:17], s[16:17], exec
	s_andn2_saveexec_b64 s[0:1], s[18:19]
	s_cbranch_execz .LBB6_111
.LBB6_413:
	s_andn2_b64 s[16:17], s[16:17], exec
	s_and_b64 s[18:19], s[2:3], exec
	s_mov_b64 s[14:15], exec
	s_or_b64 s[16:17], s[16:17], s[18:19]
	s_or_b64 exec, exec, s[0:1]
	s_and_saveexec_b64 s[0:1], s[16:17]
	s_xor_b64 s[0:1], exec, s[0:1]
	s_cbranch_execz .LBB6_112
.LBB6_414:
                                        ; implicit-def: $vgpr14
	s_and_saveexec_b64 s[16:17], s[4:5]
	s_xor_b64 s[16:17], exec, s[16:17]
	s_cbranch_execz .LBB6_420
; %bb.415:
                                        ; implicit-def: $vgpr14
	s_and_saveexec_b64 s[18:19], vcc
	s_xor_b64 s[18:19], exec, s[18:19]
	s_cbranch_execz .LBB6_417
; %bb.416:
	s_waitcnt vmcnt(0)
	v_bfe_u32 v14, v13, v8, 3
.LBB6_417:
	s_andn2_saveexec_b64 s[18:19], s[18:19]
	s_cbranch_execz .LBB6_419
; %bb.418:
	s_waitcnt vmcnt(0)
	v_bfe_u32 v14, v13, v6, 3
.LBB6_419:
	s_or_b64 exec, exec, s[18:19]
.LBB6_420:
	s_andn2_saveexec_b64 s[16:17], s[16:17]
	s_cbranch_execz .LBB6_422
; %bb.421:
	s_waitcnt vmcnt(0)
	v_bfe_u32 v14, v13, v7, 3
.LBB6_422:
	s_or_b64 exec, exec, s[16:17]
	s_andn2_b64 s[14:15], s[14:15], exec
	s_or_b64 exec, exec, s[0:1]
	s_and_saveexec_b64 s[0:1], s[14:15]
	s_cbranch_execnz .LBB6_113
	s_branch .LBB6_114
.LBB6_423:
	v_cmp_eq_u32_e64 s[0:1], 21, v10
	s_mov_b64 s[16:17], -1
                                        ; implicit-def: $vgpr14
	s_and_saveexec_b64 s[20:21], s[0:1]
	s_cbranch_execz .LBB6_425
; %bb.424:
	global_load_dword v14, v[2:3], off offset:4
	s_xor_b64 s[16:17], exec, -1
	s_waitcnt vmcnt(0)
	v_alignbit_b32 v14, v14, v13, 31
	v_and_b32_e32 v14, 7, v14
.LBB6_425:
	s_or_b64 exec, exec, s[20:21]
	s_and_b64 s[16:17], s[16:17], exec
	s_andn2_saveexec_b64 s[0:1], s[18:19]
	s_cbranch_execz .LBB6_116
.LBB6_426:
	s_andn2_b64 s[16:17], s[16:17], exec
	s_and_b64 s[18:19], s[2:3], exec
	s_mov_b64 s[14:15], exec
	s_or_b64 s[16:17], s[16:17], s[18:19]
	s_or_b64 exec, exec, s[0:1]
	s_and_saveexec_b64 s[0:1], s[16:17]
	s_xor_b64 s[0:1], exec, s[0:1]
	s_cbranch_execz .LBB6_117
.LBB6_427:
                                        ; implicit-def: $vgpr14
	s_and_saveexec_b64 s[16:17], s[4:5]
	s_xor_b64 s[16:17], exec, s[16:17]
	s_cbranch_execz .LBB6_433
; %bb.428:
                                        ; implicit-def: $vgpr14
	s_and_saveexec_b64 s[18:19], vcc
	s_xor_b64 s[18:19], exec, s[18:19]
	s_cbranch_execz .LBB6_430
; %bb.429:
	s_waitcnt vmcnt(0)
	v_bfe_u32 v14, v13, v8, 3
.LBB6_430:
	s_andn2_saveexec_b64 s[18:19], s[18:19]
	s_cbranch_execz .LBB6_432
; %bb.431:
	s_waitcnt vmcnt(0)
	v_bfe_u32 v14, v13, v6, 3
.LBB6_432:
	s_or_b64 exec, exec, s[18:19]
.LBB6_433:
	s_andn2_saveexec_b64 s[16:17], s[16:17]
	s_cbranch_execz .LBB6_435
; %bb.434:
	s_waitcnt vmcnt(0)
	v_bfe_u32 v14, v13, v7, 3
.LBB6_435:
	s_or_b64 exec, exec, s[16:17]
	s_andn2_b64 s[14:15], s[14:15], exec
	s_or_b64 exec, exec, s[0:1]
	s_and_saveexec_b64 s[0:1], s[14:15]
	s_cbranch_execnz .LBB6_118
	s_branch .LBB6_119
.LBB6_436:
	v_cmp_eq_u32_e64 s[0:1], 21, v10
	s_mov_b64 s[16:17], -1
                                        ; implicit-def: $vgpr14
	s_and_saveexec_b64 s[20:21], s[0:1]
	s_cbranch_execz .LBB6_438
; %bb.437:
	global_load_dword v14, v[2:3], off offset:4
	s_xor_b64 s[16:17], exec, -1
	s_waitcnt vmcnt(0)
	v_alignbit_b32 v14, v14, v13, 31
	v_and_b32_e32 v14, 7, v14
.LBB6_438:
	s_or_b64 exec, exec, s[20:21]
	s_and_b64 s[16:17], s[16:17], exec
	s_andn2_saveexec_b64 s[0:1], s[18:19]
	s_cbranch_execz .LBB6_121
.LBB6_439:
	s_andn2_b64 s[16:17], s[16:17], exec
	s_and_b64 s[18:19], s[2:3], exec
	s_mov_b64 s[14:15], exec
	s_or_b64 s[16:17], s[16:17], s[18:19]
	s_or_b64 exec, exec, s[0:1]
	s_and_saveexec_b64 s[0:1], s[16:17]
	s_xor_b64 s[0:1], exec, s[0:1]
	s_cbranch_execz .LBB6_122
.LBB6_440:
                                        ; implicit-def: $vgpr14
	s_and_saveexec_b64 s[16:17], s[4:5]
	s_xor_b64 s[16:17], exec, s[16:17]
	s_cbranch_execz .LBB6_446
; %bb.441:
                                        ; implicit-def: $vgpr14
	s_and_saveexec_b64 s[18:19], vcc
	s_xor_b64 s[18:19], exec, s[18:19]
	s_cbranch_execz .LBB6_443
; %bb.442:
	s_waitcnt vmcnt(0)
	v_bfe_u32 v14, v13, v8, 3
.LBB6_443:
	s_andn2_saveexec_b64 s[18:19], s[18:19]
	s_cbranch_execz .LBB6_445
; %bb.444:
	s_waitcnt vmcnt(0)
	v_bfe_u32 v14, v13, v6, 3
.LBB6_445:
	s_or_b64 exec, exec, s[18:19]
.LBB6_446:
	s_andn2_saveexec_b64 s[16:17], s[16:17]
	s_cbranch_execz .LBB6_448
; %bb.447:
	s_waitcnt vmcnt(0)
	v_bfe_u32 v14, v13, v7, 3
.LBB6_448:
	s_or_b64 exec, exec, s[16:17]
	s_andn2_b64 s[14:15], s[14:15], exec
	s_or_b64 exec, exec, s[0:1]
	s_and_saveexec_b64 s[0:1], s[14:15]
	s_cbranch_execnz .LBB6_123
	s_branch .LBB6_124
.LBB6_449:
	v_cmp_eq_u32_e64 s[0:1], 21, v10
	s_mov_b64 s[16:17], -1
                                        ; implicit-def: $vgpr13
	s_and_saveexec_b64 s[20:21], s[0:1]
	s_cbranch_execz .LBB6_451
; %bb.450:
	global_load_dword v13, v[2:3], off offset:4
	s_xor_b64 s[16:17], exec, -1
	s_waitcnt vmcnt(0)
	v_alignbit_b32 v13, v13, v12, 31
	v_and_b32_e32 v13, 7, v13
.LBB6_451:
	s_or_b64 exec, exec, s[20:21]
	s_and_b64 s[16:17], s[16:17], exec
	s_andn2_saveexec_b64 s[0:1], s[18:19]
	s_cbranch_execz .LBB6_126
.LBB6_452:
	s_andn2_b64 s[16:17], s[16:17], exec
	s_and_b64 s[18:19], s[2:3], exec
	s_mov_b64 s[14:15], exec
	s_or_b64 s[16:17], s[16:17], s[18:19]
	s_or_b64 exec, exec, s[0:1]
	s_and_saveexec_b64 s[0:1], s[16:17]
	s_xor_b64 s[0:1], exec, s[0:1]
	s_cbranch_execz .LBB6_127
.LBB6_453:
                                        ; implicit-def: $vgpr13
	s_and_saveexec_b64 s[16:17], s[4:5]
	s_xor_b64 s[16:17], exec, s[16:17]
	s_cbranch_execz .LBB6_459
; %bb.454:
                                        ; implicit-def: $vgpr13
	s_and_saveexec_b64 s[18:19], vcc
	s_xor_b64 s[18:19], exec, s[18:19]
	s_cbranch_execz .LBB6_456
; %bb.455:
	s_waitcnt vmcnt(0)
	v_bfe_u32 v13, v12, v8, 3
.LBB6_456:
	s_andn2_saveexec_b64 s[18:19], s[18:19]
	s_cbranch_execz .LBB6_458
; %bb.457:
	s_waitcnt vmcnt(0)
	v_bfe_u32 v13, v12, v6, 3
.LBB6_458:
	s_or_b64 exec, exec, s[18:19]
.LBB6_459:
	s_andn2_saveexec_b64 s[16:17], s[16:17]
	s_cbranch_execz .LBB6_461
; %bb.460:
	s_waitcnt vmcnt(0)
	v_bfe_u32 v13, v12, v7, 3
.LBB6_461:
	s_or_b64 exec, exec, s[16:17]
	s_andn2_b64 s[14:15], s[14:15], exec
	s_or_b64 exec, exec, s[0:1]
	s_and_saveexec_b64 s[0:1], s[14:15]
	s_cbranch_execnz .LBB6_128
	s_branch .LBB6_129
.LBB6_462:
	v_cmp_eq_u32_e64 s[0:1], 21, v10
	s_mov_b64 s[16:17], -1
                                        ; implicit-def: $vgpr13
	s_and_saveexec_b64 s[20:21], s[0:1]
	s_cbranch_execz .LBB6_464
; %bb.463:
	global_load_dword v13, v[2:3], off offset:4
	s_xor_b64 s[16:17], exec, -1
	s_waitcnt vmcnt(0)
	v_alignbit_b32 v13, v13, v12, 31
	v_and_b32_e32 v13, 7, v13
.LBB6_464:
	s_or_b64 exec, exec, s[20:21]
	s_and_b64 s[16:17], s[16:17], exec
	s_andn2_saveexec_b64 s[0:1], s[18:19]
	s_cbranch_execz .LBB6_131
.LBB6_465:
	s_andn2_b64 s[16:17], s[16:17], exec
	s_and_b64 s[18:19], s[2:3], exec
	s_mov_b64 s[14:15], exec
	s_or_b64 s[16:17], s[16:17], s[18:19]
	s_or_b64 exec, exec, s[0:1]
	s_and_saveexec_b64 s[0:1], s[16:17]
	s_xor_b64 s[0:1], exec, s[0:1]
	s_cbranch_execz .LBB6_132
.LBB6_466:
                                        ; implicit-def: $vgpr13
	s_and_saveexec_b64 s[16:17], s[4:5]
	s_xor_b64 s[16:17], exec, s[16:17]
	s_cbranch_execz .LBB6_472
; %bb.467:
                                        ; implicit-def: $vgpr13
	s_and_saveexec_b64 s[18:19], vcc
	s_xor_b64 s[18:19], exec, s[18:19]
	s_cbranch_execz .LBB6_469
; %bb.468:
	s_waitcnt vmcnt(0)
	v_bfe_u32 v13, v12, v8, 3
.LBB6_469:
	s_andn2_saveexec_b64 s[18:19], s[18:19]
	s_cbranch_execz .LBB6_471
; %bb.470:
	s_waitcnt vmcnt(0)
	v_bfe_u32 v13, v12, v6, 3
.LBB6_471:
	s_or_b64 exec, exec, s[18:19]
.LBB6_472:
	s_andn2_saveexec_b64 s[16:17], s[16:17]
	s_cbranch_execz .LBB6_474
; %bb.473:
	s_waitcnt vmcnt(0)
	v_bfe_u32 v13, v12, v7, 3
.LBB6_474:
	s_or_b64 exec, exec, s[16:17]
	s_andn2_b64 s[14:15], s[14:15], exec
	s_or_b64 exec, exec, s[0:1]
	s_and_saveexec_b64 s[0:1], s[14:15]
	s_cbranch_execnz .LBB6_133
	s_branch .LBB6_134
.LBB6_475:
	v_cmp_eq_u32_e64 s[0:1], 21, v10
	s_mov_b64 s[16:17], -1
                                        ; implicit-def: $vgpr13
	s_and_saveexec_b64 s[20:21], s[0:1]
	s_cbranch_execz .LBB6_477
; %bb.476:
	global_load_dword v13, v[2:3], off offset:4
	s_xor_b64 s[16:17], exec, -1
	s_waitcnt vmcnt(0)
	v_alignbit_b32 v13, v13, v12, 31
	v_and_b32_e32 v13, 7, v13
.LBB6_477:
	s_or_b64 exec, exec, s[20:21]
	s_and_b64 s[16:17], s[16:17], exec
	s_andn2_saveexec_b64 s[0:1], s[18:19]
	s_cbranch_execz .LBB6_136
.LBB6_478:
	s_andn2_b64 s[16:17], s[16:17], exec
	s_and_b64 s[18:19], s[2:3], exec
	s_mov_b64 s[14:15], exec
	s_or_b64 s[16:17], s[16:17], s[18:19]
	s_or_b64 exec, exec, s[0:1]
	s_and_saveexec_b64 s[0:1], s[16:17]
	s_xor_b64 s[0:1], exec, s[0:1]
	s_cbranch_execz .LBB6_137
.LBB6_479:
                                        ; implicit-def: $vgpr13
	s_and_saveexec_b64 s[16:17], s[4:5]
	s_xor_b64 s[16:17], exec, s[16:17]
	s_cbranch_execz .LBB6_485
; %bb.480:
                                        ; implicit-def: $vgpr13
	s_and_saveexec_b64 s[18:19], vcc
	s_xor_b64 s[18:19], exec, s[18:19]
	s_cbranch_execz .LBB6_482
; %bb.481:
	s_waitcnt vmcnt(0)
	v_bfe_u32 v13, v12, v8, 3
.LBB6_482:
	s_andn2_saveexec_b64 s[18:19], s[18:19]
	s_cbranch_execz .LBB6_484
; %bb.483:
	s_waitcnt vmcnt(0)
	v_bfe_u32 v13, v12, v6, 3
.LBB6_484:
	s_or_b64 exec, exec, s[18:19]
.LBB6_485:
	s_andn2_saveexec_b64 s[16:17], s[16:17]
	s_cbranch_execz .LBB6_487
; %bb.486:
	s_waitcnt vmcnt(0)
	v_bfe_u32 v13, v12, v7, 3
.LBB6_487:
	s_or_b64 exec, exec, s[16:17]
	s_andn2_b64 s[14:15], s[14:15], exec
	s_or_b64 exec, exec, s[0:1]
	s_and_saveexec_b64 s[0:1], s[14:15]
	s_cbranch_execnz .LBB6_138
	s_branch .LBB6_139
.LBB6_488:
	v_cmp_eq_u32_e64 s[0:1], 21, v10
	s_mov_b64 s[16:17], -1
                                        ; implicit-def: $vgpr13
	s_and_saveexec_b64 s[20:21], s[0:1]
	s_cbranch_execz .LBB6_490
; %bb.489:
	global_load_dword v13, v[2:3], off offset:4
	s_xor_b64 s[16:17], exec, -1
	s_waitcnt vmcnt(0)
	v_alignbit_b32 v13, v13, v12, 31
	v_and_b32_e32 v13, 7, v13
.LBB6_490:
	s_or_b64 exec, exec, s[20:21]
	s_and_b64 s[16:17], s[16:17], exec
	s_andn2_saveexec_b64 s[0:1], s[18:19]
	s_cbranch_execz .LBB6_141
.LBB6_491:
	s_andn2_b64 s[16:17], s[16:17], exec
	s_and_b64 s[18:19], s[2:3], exec
	s_mov_b64 s[14:15], exec
	s_or_b64 s[16:17], s[16:17], s[18:19]
	s_or_b64 exec, exec, s[0:1]
	s_and_saveexec_b64 s[0:1], s[16:17]
	s_xor_b64 s[0:1], exec, s[0:1]
	s_cbranch_execz .LBB6_142
.LBB6_492:
                                        ; implicit-def: $vgpr13
	s_and_saveexec_b64 s[16:17], s[4:5]
	s_xor_b64 s[16:17], exec, s[16:17]
	s_cbranch_execz .LBB6_498
; %bb.493:
                                        ; implicit-def: $vgpr13
	s_and_saveexec_b64 s[18:19], vcc
	s_xor_b64 s[18:19], exec, s[18:19]
	s_cbranch_execz .LBB6_495
; %bb.494:
	s_waitcnt vmcnt(0)
	v_bfe_u32 v13, v12, v8, 3
.LBB6_495:
	s_andn2_saveexec_b64 s[18:19], s[18:19]
	s_cbranch_execz .LBB6_497
; %bb.496:
	s_waitcnt vmcnt(0)
	v_bfe_u32 v13, v12, v6, 3
.LBB6_497:
	s_or_b64 exec, exec, s[18:19]
.LBB6_498:
	s_andn2_saveexec_b64 s[16:17], s[16:17]
	s_cbranch_execz .LBB6_500
; %bb.499:
	s_waitcnt vmcnt(0)
	v_bfe_u32 v13, v12, v7, 3
.LBB6_500:
	s_or_b64 exec, exec, s[16:17]
	s_andn2_b64 s[14:15], s[14:15], exec
	s_or_b64 exec, exec, s[0:1]
	s_and_saveexec_b64 s[0:1], s[14:15]
	s_cbranch_execnz .LBB6_143
	s_branch .LBB6_144
.LBB6_501:
	v_cmp_eq_u32_e64 s[0:1], 21, v10
	s_mov_b64 s[16:17], -1
                                        ; implicit-def: $vgpr13
	s_and_saveexec_b64 s[20:21], s[0:1]
	s_cbranch_execz .LBB6_503
; %bb.502:
	global_load_dword v13, v[2:3], off offset:4
	s_xor_b64 s[16:17], exec, -1
	s_waitcnt vmcnt(0)
	v_alignbit_b32 v13, v13, v12, 31
	v_and_b32_e32 v13, 7, v13
.LBB6_503:
	s_or_b64 exec, exec, s[20:21]
	s_and_b64 s[16:17], s[16:17], exec
	s_andn2_saveexec_b64 s[0:1], s[18:19]
	s_cbranch_execz .LBB6_146
.LBB6_504:
	s_andn2_b64 s[16:17], s[16:17], exec
	s_and_b64 s[18:19], s[2:3], exec
	s_mov_b64 s[14:15], exec
	s_or_b64 s[16:17], s[16:17], s[18:19]
	s_or_b64 exec, exec, s[0:1]
	s_and_saveexec_b64 s[0:1], s[16:17]
	s_xor_b64 s[0:1], exec, s[0:1]
	s_cbranch_execz .LBB6_147
.LBB6_505:
                                        ; implicit-def: $vgpr13
	s_and_saveexec_b64 s[16:17], s[4:5]
	s_xor_b64 s[16:17], exec, s[16:17]
	s_cbranch_execz .LBB6_511
; %bb.506:
                                        ; implicit-def: $vgpr13
	s_and_saveexec_b64 s[18:19], vcc
	s_xor_b64 s[18:19], exec, s[18:19]
	s_cbranch_execz .LBB6_508
; %bb.507:
	s_waitcnt vmcnt(0)
	v_bfe_u32 v13, v12, v8, 3
.LBB6_508:
	s_andn2_saveexec_b64 s[18:19], s[18:19]
	s_cbranch_execz .LBB6_510
; %bb.509:
	s_waitcnt vmcnt(0)
	v_bfe_u32 v13, v12, v6, 3
.LBB6_510:
	s_or_b64 exec, exec, s[18:19]
.LBB6_511:
	s_andn2_saveexec_b64 s[16:17], s[16:17]
	s_cbranch_execz .LBB6_513
; %bb.512:
	s_waitcnt vmcnt(0)
	v_bfe_u32 v13, v12, v7, 3
.LBB6_513:
	s_or_b64 exec, exec, s[16:17]
	s_andn2_b64 s[14:15], s[14:15], exec
	s_or_b64 exec, exec, s[0:1]
	s_and_saveexec_b64 s[0:1], s[14:15]
	s_cbranch_execnz .LBB6_148
	s_branch .LBB6_149
.LBB6_514:
	v_cmp_eq_u32_e64 s[0:1], 21, v10
	s_mov_b64 s[16:17], -1
                                        ; implicit-def: $vgpr13
	s_and_saveexec_b64 s[20:21], s[0:1]
	s_cbranch_execz .LBB6_516
; %bb.515:
	global_load_dword v13, v[2:3], off offset:4
	s_xor_b64 s[16:17], exec, -1
	s_waitcnt vmcnt(0)
	v_alignbit_b32 v13, v13, v12, 31
	v_and_b32_e32 v13, 7, v13
.LBB6_516:
	s_or_b64 exec, exec, s[20:21]
	s_and_b64 s[16:17], s[16:17], exec
	s_andn2_saveexec_b64 s[0:1], s[18:19]
	s_cbranch_execz .LBB6_151
.LBB6_517:
	s_andn2_b64 s[16:17], s[16:17], exec
	s_and_b64 s[18:19], s[2:3], exec
	s_mov_b64 s[14:15], exec
	s_or_b64 s[16:17], s[16:17], s[18:19]
	s_or_b64 exec, exec, s[0:1]
	s_and_saveexec_b64 s[0:1], s[16:17]
	s_xor_b64 s[0:1], exec, s[0:1]
	s_cbranch_execz .LBB6_152
.LBB6_518:
                                        ; implicit-def: $vgpr13
	s_and_saveexec_b64 s[16:17], s[4:5]
	s_xor_b64 s[16:17], exec, s[16:17]
	s_cbranch_execz .LBB6_524
; %bb.519:
                                        ; implicit-def: $vgpr13
	s_and_saveexec_b64 s[18:19], vcc
	s_xor_b64 s[18:19], exec, s[18:19]
	s_cbranch_execz .LBB6_521
; %bb.520:
	s_waitcnt vmcnt(0)
	v_bfe_u32 v13, v12, v8, 3
.LBB6_521:
	s_andn2_saveexec_b64 s[18:19], s[18:19]
	s_cbranch_execz .LBB6_523
; %bb.522:
	s_waitcnt vmcnt(0)
	v_bfe_u32 v13, v12, v6, 3
.LBB6_523:
	s_or_b64 exec, exec, s[18:19]
.LBB6_524:
	s_andn2_saveexec_b64 s[16:17], s[16:17]
	s_cbranch_execz .LBB6_526
; %bb.525:
	s_waitcnt vmcnt(0)
	v_bfe_u32 v13, v12, v7, 3
.LBB6_526:
	s_or_b64 exec, exec, s[16:17]
	s_andn2_b64 s[14:15], s[14:15], exec
	s_or_b64 exec, exec, s[0:1]
	s_and_saveexec_b64 s[0:1], s[14:15]
	s_cbranch_execnz .LBB6_153
	s_branch .LBB6_154
.LBB6_527:
	v_cmp_eq_u32_e64 s[0:1], 21, v10
	s_mov_b64 s[16:17], -1
                                        ; implicit-def: $vgpr13
	s_and_saveexec_b64 s[20:21], s[0:1]
	s_cbranch_execz .LBB6_529
; %bb.528:
	global_load_dword v13, v[2:3], off offset:4
	s_xor_b64 s[16:17], exec, -1
	s_waitcnt vmcnt(0)
	v_alignbit_b32 v13, v13, v12, 31
	v_and_b32_e32 v13, 7, v13
.LBB6_529:
	s_or_b64 exec, exec, s[20:21]
	s_and_b64 s[16:17], s[16:17], exec
	s_andn2_saveexec_b64 s[0:1], s[18:19]
	s_cbranch_execz .LBB6_156
.LBB6_530:
	s_andn2_b64 s[16:17], s[16:17], exec
	s_and_b64 s[18:19], s[2:3], exec
	s_mov_b64 s[14:15], exec
	s_or_b64 s[16:17], s[16:17], s[18:19]
	s_or_b64 exec, exec, s[0:1]
	s_and_saveexec_b64 s[0:1], s[16:17]
	s_xor_b64 s[0:1], exec, s[0:1]
	s_cbranch_execz .LBB6_157
.LBB6_531:
                                        ; implicit-def: $vgpr13
	s_and_saveexec_b64 s[16:17], s[4:5]
	s_xor_b64 s[16:17], exec, s[16:17]
	s_cbranch_execz .LBB6_537
; %bb.532:
                                        ; implicit-def: $vgpr13
	s_and_saveexec_b64 s[18:19], vcc
	s_xor_b64 s[18:19], exec, s[18:19]
	s_cbranch_execz .LBB6_534
; %bb.533:
	s_waitcnt vmcnt(0)
	v_bfe_u32 v13, v12, v8, 3
.LBB6_534:
	s_andn2_saveexec_b64 s[18:19], s[18:19]
	s_cbranch_execz .LBB6_536
; %bb.535:
	s_waitcnt vmcnt(0)
	v_bfe_u32 v13, v12, v6, 3
.LBB6_536:
	s_or_b64 exec, exec, s[18:19]
.LBB6_537:
	s_andn2_saveexec_b64 s[16:17], s[16:17]
	s_cbranch_execz .LBB6_539
; %bb.538:
	s_waitcnt vmcnt(0)
	v_bfe_u32 v13, v12, v7, 3
.LBB6_539:
	s_or_b64 exec, exec, s[16:17]
	s_andn2_b64 s[14:15], s[14:15], exec
	s_or_b64 exec, exec, s[0:1]
	s_and_saveexec_b64 s[0:1], s[14:15]
	s_cbranch_execnz .LBB6_158
	s_branch .LBB6_159
.LBB6_540:
	v_cmp_eq_u32_e64 s[0:1], 21, v10
	s_mov_b64 s[16:17], -1
                                        ; implicit-def: $vgpr13
	s_and_saveexec_b64 s[20:21], s[0:1]
	s_cbranch_execz .LBB6_542
; %bb.541:
	global_load_dword v13, v[2:3], off offset:4
	s_xor_b64 s[16:17], exec, -1
	s_waitcnt vmcnt(0)
	v_alignbit_b32 v13, v13, v12, 31
	v_and_b32_e32 v13, 7, v13
.LBB6_542:
	s_or_b64 exec, exec, s[20:21]
	s_and_b64 s[16:17], s[16:17], exec
	s_andn2_saveexec_b64 s[0:1], s[18:19]
	s_cbranch_execz .LBB6_161
.LBB6_543:
	s_andn2_b64 s[16:17], s[16:17], exec
	s_and_b64 s[18:19], s[2:3], exec
	s_mov_b64 s[14:15], exec
	s_or_b64 s[16:17], s[16:17], s[18:19]
	s_or_b64 exec, exec, s[0:1]
	s_and_saveexec_b64 s[0:1], s[16:17]
	s_xor_b64 s[0:1], exec, s[0:1]
	s_cbranch_execz .LBB6_162
.LBB6_544:
                                        ; implicit-def: $vgpr13
	s_and_saveexec_b64 s[16:17], s[4:5]
	s_xor_b64 s[16:17], exec, s[16:17]
	s_cbranch_execz .LBB6_550
; %bb.545:
                                        ; implicit-def: $vgpr13
	s_and_saveexec_b64 s[18:19], vcc
	s_xor_b64 s[18:19], exec, s[18:19]
	s_cbranch_execz .LBB6_547
; %bb.546:
	s_waitcnt vmcnt(0)
	v_bfe_u32 v13, v12, v8, 3
.LBB6_547:
	s_andn2_saveexec_b64 s[18:19], s[18:19]
	s_cbranch_execz .LBB6_549
; %bb.548:
	s_waitcnt vmcnt(0)
	v_bfe_u32 v13, v12, v6, 3
.LBB6_549:
	s_or_b64 exec, exec, s[18:19]
.LBB6_550:
	s_andn2_saveexec_b64 s[16:17], s[16:17]
	s_cbranch_execz .LBB6_552
; %bb.551:
	s_waitcnt vmcnt(0)
	v_bfe_u32 v13, v12, v7, 3
.LBB6_552:
	s_or_b64 exec, exec, s[16:17]
	s_andn2_b64 s[14:15], s[14:15], exec
	s_or_b64 exec, exec, s[0:1]
	s_and_saveexec_b64 s[0:1], s[14:15]
	s_cbranch_execnz .LBB6_163
	s_branch .LBB6_164
.LBB6_553:
	v_cmp_eq_u32_e64 s[0:1], 21, v10
	s_mov_b64 s[16:17], -1
                                        ; implicit-def: $vgpr13
	s_and_saveexec_b64 s[20:21], s[0:1]
	s_cbranch_execz .LBB6_555
; %bb.554:
	global_load_dword v13, v[2:3], off offset:4
	s_xor_b64 s[16:17], exec, -1
	s_waitcnt vmcnt(0)
	v_alignbit_b32 v13, v13, v12, 31
	v_and_b32_e32 v13, 7, v13
.LBB6_555:
	s_or_b64 exec, exec, s[20:21]
	s_and_b64 s[16:17], s[16:17], exec
	s_andn2_saveexec_b64 s[0:1], s[18:19]
	s_cbranch_execz .LBB6_166
.LBB6_556:
	s_andn2_b64 s[16:17], s[16:17], exec
	s_and_b64 s[18:19], s[2:3], exec
	s_mov_b64 s[14:15], exec
	s_or_b64 s[16:17], s[16:17], s[18:19]
	s_or_b64 exec, exec, s[0:1]
	s_and_saveexec_b64 s[0:1], s[16:17]
	s_xor_b64 s[0:1], exec, s[0:1]
	s_cbranch_execz .LBB6_167
.LBB6_557:
                                        ; implicit-def: $vgpr13
	s_and_saveexec_b64 s[16:17], s[4:5]
	s_xor_b64 s[16:17], exec, s[16:17]
	s_cbranch_execz .LBB6_563
; %bb.558:
                                        ; implicit-def: $vgpr13
	s_and_saveexec_b64 s[18:19], vcc
	s_xor_b64 s[18:19], exec, s[18:19]
	s_cbranch_execz .LBB6_560
; %bb.559:
	s_waitcnt vmcnt(0)
	v_bfe_u32 v13, v12, v8, 3
.LBB6_560:
	s_andn2_saveexec_b64 s[18:19], s[18:19]
	s_cbranch_execz .LBB6_562
; %bb.561:
	s_waitcnt vmcnt(0)
	v_bfe_u32 v13, v12, v6, 3
.LBB6_562:
	s_or_b64 exec, exec, s[18:19]
.LBB6_563:
	s_andn2_saveexec_b64 s[16:17], s[16:17]
	s_cbranch_execz .LBB6_565
; %bb.564:
	s_waitcnt vmcnt(0)
	v_bfe_u32 v13, v12, v7, 3
.LBB6_565:
	s_or_b64 exec, exec, s[16:17]
	s_andn2_b64 s[14:15], s[14:15], exec
	s_or_b64 exec, exec, s[0:1]
	s_and_saveexec_b64 s[0:1], s[14:15]
	s_cbranch_execnz .LBB6_168
	s_branch .LBB6_169
.LBB6_566:
	v_cmp_eq_u32_e64 s[0:1], 21, v10
	s_mov_b64 s[8:9], -1
                                        ; implicit-def: $vgpr11
	s_and_saveexec_b64 s[14:15], s[0:1]
	s_cbranch_execz .LBB6_568
; %bb.567:
	global_load_dword v10, v[2:3], off offset:4
	s_xor_b64 s[8:9], exec, -1
	s_waitcnt vmcnt(0)
	v_alignbit_b32 v10, v10, v9, 31
	v_and_b32_e32 v11, 7, v10
.LBB6_568:
	s_or_b64 exec, exec, s[14:15]
	s_and_b64 s[8:9], s[8:9], exec
	s_andn2_saveexec_b64 s[0:1], s[10:11]
	s_cbranch_execz .LBB6_171
.LBB6_569:
	s_andn2_b64 s[8:9], s[8:9], exec
	s_and_b64 s[2:3], s[2:3], exec
	s_mov_b64 s[6:7], exec
	s_or_b64 s[8:9], s[8:9], s[2:3]
	s_or_b64 exec, exec, s[0:1]
	s_and_saveexec_b64 s[0:1], s[8:9]
	s_xor_b64 s[0:1], exec, s[0:1]
	s_cbranch_execz .LBB6_172
.LBB6_570:
                                        ; implicit-def: $vgpr11
	s_and_saveexec_b64 s[2:3], s[4:5]
	s_xor_b64 s[2:3], exec, s[2:3]
	s_cbranch_execz .LBB6_576
; %bb.571:
                                        ; implicit-def: $vgpr11
	s_and_saveexec_b64 s[4:5], vcc
	s_xor_b64 s[4:5], exec, s[4:5]
	s_cbranch_execz .LBB6_573
; %bb.572:
	s_waitcnt vmcnt(0)
	v_bfe_u32 v11, v9, v8, 3
                                        ; implicit-def: $vgpr6
.LBB6_573:
	s_andn2_saveexec_b64 s[4:5], s[4:5]
	s_cbranch_execz .LBB6_575
; %bb.574:
	s_waitcnt vmcnt(0)
	v_bfe_u32 v11, v9, v6, 3
.LBB6_575:
	s_or_b64 exec, exec, s[4:5]
                                        ; implicit-def: $vgpr7
.LBB6_576:
	s_andn2_saveexec_b64 s[2:3], s[2:3]
	s_cbranch_execz .LBB6_578
; %bb.577:
	s_waitcnt vmcnt(0)
	v_bfe_u32 v11, v9, v7, 3
.LBB6_578:
	s_or_b64 exec, exec, s[2:3]
	s_andn2_b64 s[6:7], s[6:7], exec
	s_or_b64 exec, exec, s[0:1]
	s_and_saveexec_b64 s[0:1], s[6:7]
	s_cbranch_execnz .LBB6_173
	s_branch .LBB6_174
	.section	.rodata,"a",@progbits
	.p2align	6, 0x0
	.amdhsa_kernel _ZN4vllm4gptq28reconstruct_gptq_3bit_kernelEPKjPK6__halfS2_PKiiiibPS3_
		.amdhsa_group_segment_fixed_size 0
		.amdhsa_private_segment_fixed_size 0
		.amdhsa_kernarg_size 56
		.amdhsa_user_sgpr_count 2
		.amdhsa_user_sgpr_dispatch_ptr 0
		.amdhsa_user_sgpr_queue_ptr 0
		.amdhsa_user_sgpr_kernarg_segment_ptr 1
		.amdhsa_user_sgpr_dispatch_id 0
		.amdhsa_user_sgpr_kernarg_preload_length 0
		.amdhsa_user_sgpr_kernarg_preload_offset 0
		.amdhsa_user_sgpr_private_segment_size 0
		.amdhsa_uses_dynamic_stack 0
		.amdhsa_enable_private_segment 0
		.amdhsa_system_sgpr_workgroup_id_x 1
		.amdhsa_system_sgpr_workgroup_id_y 1
		.amdhsa_system_sgpr_workgroup_id_z 0
		.amdhsa_system_sgpr_workgroup_info 0
		.amdhsa_system_vgpr_workitem_id 0
		.amdhsa_next_free_vgpr 16
		.amdhsa_next_free_sgpr 27
		.amdhsa_accum_offset 16
		.amdhsa_reserve_vcc 1
		.amdhsa_float_round_mode_32 0
		.amdhsa_float_round_mode_16_64 0
		.amdhsa_float_denorm_mode_32 3
		.amdhsa_float_denorm_mode_16_64 3
		.amdhsa_dx10_clamp 1
		.amdhsa_ieee_mode 1
		.amdhsa_fp16_overflow 0
		.amdhsa_tg_split 0
		.amdhsa_exception_fp_ieee_invalid_op 0
		.amdhsa_exception_fp_denorm_src 0
		.amdhsa_exception_fp_ieee_div_zero 0
		.amdhsa_exception_fp_ieee_overflow 0
		.amdhsa_exception_fp_ieee_underflow 0
		.amdhsa_exception_fp_ieee_inexact 0
		.amdhsa_exception_int_div_zero 0
	.end_amdhsa_kernel
	.text
.Lfunc_end6:
	.size	_ZN4vllm4gptq28reconstruct_gptq_3bit_kernelEPKjPK6__halfS2_PKiiiibPS3_, .Lfunc_end6-_ZN4vllm4gptq28reconstruct_gptq_3bit_kernelEPKjPK6__halfS2_PKiiiibPS3_
                                        ; -- End function
	.set _ZN4vllm4gptq28reconstruct_gptq_3bit_kernelEPKjPK6__halfS2_PKiiiibPS3_.num_vgpr, 16
	.set _ZN4vllm4gptq28reconstruct_gptq_3bit_kernelEPKjPK6__halfS2_PKiiiibPS3_.num_agpr, 0
	.set _ZN4vllm4gptq28reconstruct_gptq_3bit_kernelEPKjPK6__halfS2_PKiiiibPS3_.numbered_sgpr, 27
	.set _ZN4vllm4gptq28reconstruct_gptq_3bit_kernelEPKjPK6__halfS2_PKiiiibPS3_.num_named_barrier, 0
	.set _ZN4vllm4gptq28reconstruct_gptq_3bit_kernelEPKjPK6__halfS2_PKiiiibPS3_.private_seg_size, 0
	.set _ZN4vllm4gptq28reconstruct_gptq_3bit_kernelEPKjPK6__halfS2_PKiiiibPS3_.uses_vcc, 1
	.set _ZN4vllm4gptq28reconstruct_gptq_3bit_kernelEPKjPK6__halfS2_PKiiiibPS3_.uses_flat_scratch, 0
	.set _ZN4vllm4gptq28reconstruct_gptq_3bit_kernelEPKjPK6__halfS2_PKiiiibPS3_.has_dyn_sized_stack, 0
	.set _ZN4vllm4gptq28reconstruct_gptq_3bit_kernelEPKjPK6__halfS2_PKiiiibPS3_.has_recursion, 0
	.set _ZN4vllm4gptq28reconstruct_gptq_3bit_kernelEPKjPK6__halfS2_PKiiiibPS3_.has_indirect_call, 0
	.section	.AMDGPU.csdata,"",@progbits
; Kernel info:
; codeLenInByte = 13796
; TotalNumSgprs: 33
; NumVgprs: 16
; NumAgprs: 0
; TotalNumVgprs: 16
; ScratchSize: 0
; MemoryBound: 0
; FloatMode: 240
; IeeeMode: 1
; LDSByteSize: 0 bytes/workgroup (compile time only)
; SGPRBlocks: 4
; VGPRBlocks: 1
; NumSGPRsForWavesPerEU: 33
; NumVGPRsForWavesPerEU: 16
; AccumOffset: 16
; Occupancy: 8
; WaveLimiterHint : 1
; COMPUTE_PGM_RSRC2:SCRATCH_EN: 0
; COMPUTE_PGM_RSRC2:USER_SGPR: 2
; COMPUTE_PGM_RSRC2:TRAP_HANDLER: 0
; COMPUTE_PGM_RSRC2:TGID_X_EN: 1
; COMPUTE_PGM_RSRC2:TGID_Y_EN: 1
; COMPUTE_PGM_RSRC2:TGID_Z_EN: 0
; COMPUTE_PGM_RSRC2:TIDIG_COMP_CNT: 0
; COMPUTE_PGM_RSRC3_GFX90A:ACCUM_OFFSET: 3
; COMPUTE_PGM_RSRC3_GFX90A:TG_SPLIT: 0
	.text
	.protected	_ZN4vllm4gptq19shuffle_4bit_kernelEPjii ; -- Begin function _ZN4vllm4gptq19shuffle_4bit_kernelEPjii
	.globl	_ZN4vllm4gptq19shuffle_4bit_kernelEPjii
	.p2align	8
	.type	_ZN4vllm4gptq19shuffle_4bit_kernelEPjii,@function
_ZN4vllm4gptq19shuffle_4bit_kernelEPjii: ; @_ZN4vllm4gptq19shuffle_4bit_kernelEPjii
; %bb.0:
	s_load_dwordx2 s[4:5], s[0:1], 0x8
	v_lshl_add_u32 v0, s2, 5, v0
	s_mov_b32 s3, 0
	s_waitcnt lgkmcnt(0)
	s_cmp_gt_i32 s4, 0
	v_cmp_gt_u32_e32 vcc, s5, v0
	s_cselect_b64 s[6:7], -1, 0
	s_and_b64 s[6:7], vcc, s[6:7]
	s_and_saveexec_b64 s[8:9], s[6:7]
	s_cbranch_execz .LBB7_3
; %bb.1:
	s_load_dwordx2 s[0:1], s[0:1], 0x0
	v_mov_b32_e32 v1, 0
	s_ashr_i32 s7, s5, 31
	s_mov_b32 s6, s5
	s_waitcnt lgkmcnt(0)
	v_lshl_add_u64 v[0:1], v[0:1], 2, s[0:1]
	s_lshl_b64 s[0:1], s[6:7], 2
.LBB7_2:                                ; =>This Inner Loop Header: Depth=1
	global_load_dword v2, v[0:1], off
	s_add_i32 s3, s3, 8
	s_cmp_lt_i32 s3, s4
	s_waitcnt vmcnt(0)
	v_lshrrev_b32_e32 v7, 8, v2
	v_lshrrev_b32_e32 v8, 12, v2
	v_lshlrev_b32_e32 v3, 12, v2
	v_lshlrev_b32_e32 v4, 8, v2
	v_lshrrev_b32_e32 v5, 4, v2
	v_lshlrev_b32_e32 v6, 4, v2
	v_and_b32_e32 v2, 0xf000000f, v2
	v_and_b32_e32 v7, 0xf00, v7
	;; [unrolled: 1-line block ×5, first 2 shown]
	v_or3_b32 v2, v2, v8, v7
	v_and_b32_e32 v3, 0xf0000, v3
	v_and_b32_e32 v4, 0xf00000, v4
	v_or3_b32 v2, v2, v6, v5
	v_or3_b32 v2, v2, v4, v3
	global_store_dword v[0:1], v2, off
	v_lshl_add_u64 v[0:1], v[0:1], 0, s[0:1]
	s_cbranch_scc1 .LBB7_2
.LBB7_3:
	s_endpgm
	.section	.rodata,"a",@progbits
	.p2align	6, 0x0
	.amdhsa_kernel _ZN4vllm4gptq19shuffle_4bit_kernelEPjii
		.amdhsa_group_segment_fixed_size 0
		.amdhsa_private_segment_fixed_size 0
		.amdhsa_kernarg_size 16
		.amdhsa_user_sgpr_count 2
		.amdhsa_user_sgpr_dispatch_ptr 0
		.amdhsa_user_sgpr_queue_ptr 0
		.amdhsa_user_sgpr_kernarg_segment_ptr 1
		.amdhsa_user_sgpr_dispatch_id 0
		.amdhsa_user_sgpr_kernarg_preload_length 0
		.amdhsa_user_sgpr_kernarg_preload_offset 0
		.amdhsa_user_sgpr_private_segment_size 0
		.amdhsa_uses_dynamic_stack 0
		.amdhsa_enable_private_segment 0
		.amdhsa_system_sgpr_workgroup_id_x 1
		.amdhsa_system_sgpr_workgroup_id_y 0
		.amdhsa_system_sgpr_workgroup_id_z 0
		.amdhsa_system_sgpr_workgroup_info 0
		.amdhsa_system_vgpr_workitem_id 0
		.amdhsa_next_free_vgpr 9
		.amdhsa_next_free_sgpr 10
		.amdhsa_accum_offset 12
		.amdhsa_reserve_vcc 1
		.amdhsa_float_round_mode_32 0
		.amdhsa_float_round_mode_16_64 0
		.amdhsa_float_denorm_mode_32 3
		.amdhsa_float_denorm_mode_16_64 3
		.amdhsa_dx10_clamp 1
		.amdhsa_ieee_mode 1
		.amdhsa_fp16_overflow 0
		.amdhsa_tg_split 0
		.amdhsa_exception_fp_ieee_invalid_op 0
		.amdhsa_exception_fp_denorm_src 0
		.amdhsa_exception_fp_ieee_div_zero 0
		.amdhsa_exception_fp_ieee_overflow 0
		.amdhsa_exception_fp_ieee_underflow 0
		.amdhsa_exception_fp_ieee_inexact 0
		.amdhsa_exception_int_div_zero 0
	.end_amdhsa_kernel
	.text
.Lfunc_end7:
	.size	_ZN4vllm4gptq19shuffle_4bit_kernelEPjii, .Lfunc_end7-_ZN4vllm4gptq19shuffle_4bit_kernelEPjii
                                        ; -- End function
	.set _ZN4vllm4gptq19shuffle_4bit_kernelEPjii.num_vgpr, 9
	.set _ZN4vllm4gptq19shuffle_4bit_kernelEPjii.num_agpr, 0
	.set _ZN4vllm4gptq19shuffle_4bit_kernelEPjii.numbered_sgpr, 10
	.set _ZN4vllm4gptq19shuffle_4bit_kernelEPjii.num_named_barrier, 0
	.set _ZN4vllm4gptq19shuffle_4bit_kernelEPjii.private_seg_size, 0
	.set _ZN4vllm4gptq19shuffle_4bit_kernelEPjii.uses_vcc, 1
	.set _ZN4vllm4gptq19shuffle_4bit_kernelEPjii.uses_flat_scratch, 0
	.set _ZN4vllm4gptq19shuffle_4bit_kernelEPjii.has_dyn_sized_stack, 0
	.set _ZN4vllm4gptq19shuffle_4bit_kernelEPjii.has_recursion, 0
	.set _ZN4vllm4gptq19shuffle_4bit_kernelEPjii.has_indirect_call, 0
	.section	.AMDGPU.csdata,"",@progbits
; Kernel info:
; codeLenInByte = 232
; TotalNumSgprs: 16
; NumVgprs: 9
; NumAgprs: 0
; TotalNumVgprs: 9
; ScratchSize: 0
; MemoryBound: 0
; FloatMode: 240
; IeeeMode: 1
; LDSByteSize: 0 bytes/workgroup (compile time only)
; SGPRBlocks: 1
; VGPRBlocks: 1
; NumSGPRsForWavesPerEU: 16
; NumVGPRsForWavesPerEU: 9
; AccumOffset: 12
; Occupancy: 8
; WaveLimiterHint : 0
; COMPUTE_PGM_RSRC2:SCRATCH_EN: 0
; COMPUTE_PGM_RSRC2:USER_SGPR: 2
; COMPUTE_PGM_RSRC2:TRAP_HANDLER: 0
; COMPUTE_PGM_RSRC2:TGID_X_EN: 1
; COMPUTE_PGM_RSRC2:TGID_Y_EN: 0
; COMPUTE_PGM_RSRC2:TGID_Z_EN: 0
; COMPUTE_PGM_RSRC2:TIDIG_COMP_CNT: 0
; COMPUTE_PGM_RSRC3_GFX90A:ACCUM_OFFSET: 2
; COMPUTE_PGM_RSRC3_GFX90A:TG_SPLIT: 0
	.text
	.protected	_ZN4vllm4gptq19shuffle_8bit_kernelEPjii ; -- Begin function _ZN4vllm4gptq19shuffle_8bit_kernelEPjii
	.globl	_ZN4vllm4gptq19shuffle_8bit_kernelEPjii
	.p2align	8
	.type	_ZN4vllm4gptq19shuffle_8bit_kernelEPjii,@function
_ZN4vllm4gptq19shuffle_8bit_kernelEPjii: ; @_ZN4vllm4gptq19shuffle_8bit_kernelEPjii
; %bb.0:
	s_endpgm
	.section	.rodata,"a",@progbits
	.p2align	6, 0x0
	.amdhsa_kernel _ZN4vllm4gptq19shuffle_8bit_kernelEPjii
		.amdhsa_group_segment_fixed_size 0
		.amdhsa_private_segment_fixed_size 0
		.amdhsa_kernarg_size 16
		.amdhsa_user_sgpr_count 2
		.amdhsa_user_sgpr_dispatch_ptr 0
		.amdhsa_user_sgpr_queue_ptr 0
		.amdhsa_user_sgpr_kernarg_segment_ptr 1
		.amdhsa_user_sgpr_dispatch_id 0
		.amdhsa_user_sgpr_kernarg_preload_length 0
		.amdhsa_user_sgpr_kernarg_preload_offset 0
		.amdhsa_user_sgpr_private_segment_size 0
		.amdhsa_uses_dynamic_stack 0
		.amdhsa_enable_private_segment 0
		.amdhsa_system_sgpr_workgroup_id_x 1
		.amdhsa_system_sgpr_workgroup_id_y 0
		.amdhsa_system_sgpr_workgroup_id_z 0
		.amdhsa_system_sgpr_workgroup_info 0
		.amdhsa_system_vgpr_workitem_id 0
		.amdhsa_next_free_vgpr 1
		.amdhsa_next_free_sgpr 0
		.amdhsa_accum_offset 4
		.amdhsa_reserve_vcc 0
		.amdhsa_float_round_mode_32 0
		.amdhsa_float_round_mode_16_64 0
		.amdhsa_float_denorm_mode_32 3
		.amdhsa_float_denorm_mode_16_64 3
		.amdhsa_dx10_clamp 1
		.amdhsa_ieee_mode 1
		.amdhsa_fp16_overflow 0
		.amdhsa_tg_split 0
		.amdhsa_exception_fp_ieee_invalid_op 0
		.amdhsa_exception_fp_denorm_src 0
		.amdhsa_exception_fp_ieee_div_zero 0
		.amdhsa_exception_fp_ieee_overflow 0
		.amdhsa_exception_fp_ieee_underflow 0
		.amdhsa_exception_fp_ieee_inexact 0
		.amdhsa_exception_int_div_zero 0
	.end_amdhsa_kernel
	.text
.Lfunc_end8:
	.size	_ZN4vllm4gptq19shuffle_8bit_kernelEPjii, .Lfunc_end8-_ZN4vllm4gptq19shuffle_8bit_kernelEPjii
                                        ; -- End function
	.set _ZN4vllm4gptq19shuffle_8bit_kernelEPjii.num_vgpr, 0
	.set _ZN4vllm4gptq19shuffle_8bit_kernelEPjii.num_agpr, 0
	.set _ZN4vllm4gptq19shuffle_8bit_kernelEPjii.numbered_sgpr, 0
	.set _ZN4vllm4gptq19shuffle_8bit_kernelEPjii.num_named_barrier, 0
	.set _ZN4vllm4gptq19shuffle_8bit_kernelEPjii.private_seg_size, 0
	.set _ZN4vllm4gptq19shuffle_8bit_kernelEPjii.uses_vcc, 0
	.set _ZN4vllm4gptq19shuffle_8bit_kernelEPjii.uses_flat_scratch, 0
	.set _ZN4vllm4gptq19shuffle_8bit_kernelEPjii.has_dyn_sized_stack, 0
	.set _ZN4vllm4gptq19shuffle_8bit_kernelEPjii.has_recursion, 0
	.set _ZN4vllm4gptq19shuffle_8bit_kernelEPjii.has_indirect_call, 0
	.section	.AMDGPU.csdata,"",@progbits
; Kernel info:
; codeLenInByte = 4
; TotalNumSgprs: 6
; NumVgprs: 0
; NumAgprs: 0
; TotalNumVgprs: 0
; ScratchSize: 0
; MemoryBound: 0
; FloatMode: 240
; IeeeMode: 1
; LDSByteSize: 0 bytes/workgroup (compile time only)
; SGPRBlocks: 0
; VGPRBlocks: 0
; NumSGPRsForWavesPerEU: 6
; NumVGPRsForWavesPerEU: 1
; AccumOffset: 4
; Occupancy: 8
; WaveLimiterHint : 0
; COMPUTE_PGM_RSRC2:SCRATCH_EN: 0
; COMPUTE_PGM_RSRC2:USER_SGPR: 2
; COMPUTE_PGM_RSRC2:TRAP_HANDLER: 0
; COMPUTE_PGM_RSRC2:TGID_X_EN: 1
; COMPUTE_PGM_RSRC2:TGID_Y_EN: 0
; COMPUTE_PGM_RSRC2:TGID_Z_EN: 0
; COMPUTE_PGM_RSRC2:TIDIG_COMP_CNT: 0
; COMPUTE_PGM_RSRC3_GFX90A:ACCUM_OFFSET: 0
; COMPUTE_PGM_RSRC3_GFX90A:TG_SPLIT: 0
	.text
	.protected	_ZN4vllm4gptq19shuffle_2bit_kernelEPjii ; -- Begin function _ZN4vllm4gptq19shuffle_2bit_kernelEPjii
	.globl	_ZN4vllm4gptq19shuffle_2bit_kernelEPjii
	.p2align	8
	.type	_ZN4vllm4gptq19shuffle_2bit_kernelEPjii,@function
_ZN4vllm4gptq19shuffle_2bit_kernelEPjii: ; @_ZN4vllm4gptq19shuffle_2bit_kernelEPjii
; %bb.0:
	s_load_dwordx2 s[4:5], s[0:1], 0x8
	v_lshl_add_u32 v0, s2, 5, v0
	s_mov_b32 s3, 0
	s_waitcnt lgkmcnt(0)
	s_cmp_gt_i32 s4, 0
	v_cmp_gt_u32_e32 vcc, s5, v0
	s_cselect_b64 s[6:7], -1, 0
	s_and_b64 s[6:7], vcc, s[6:7]
	s_and_saveexec_b64 s[8:9], s[6:7]
	s_cbranch_execz .LBB9_3
; %bb.1:
	s_load_dwordx2 s[0:1], s[0:1], 0x0
	v_mov_b32_e32 v1, 0
	s_ashr_i32 s7, s5, 31
	s_mov_b32 s6, s5
	s_waitcnt lgkmcnt(0)
	v_lshl_add_u64 v[0:1], v[0:1], 2, s[0:1]
	s_lshl_b64 s[0:1], s[6:7], 2
.LBB9_2:                                ; =>This Inner Loop Header: Depth=1
	global_load_dword v2, v[0:1], off
	s_add_i32 s3, s3, 16
	s_cmp_lt_i32 s3, s4
	s_waitcnt vmcnt(0)
	v_lshrrev_b32_e32 v15, 12, v2
	v_lshrrev_b32_e32 v16, 14, v2
	v_lshlrev_b32_e32 v3, 14, v2
	v_lshlrev_b32_e32 v4, 12, v2
	v_lshrrev_b32_e32 v5, 2, v2
	v_lshlrev_b32_e32 v6, 10, v2
	v_lshrrev_b32_e32 v7, 4, v2
	;; [unrolled: 2-line block ×5, first 2 shown]
	v_lshlrev_b32_e32 v14, 2, v2
	v_and_b32_e32 v2, 0xc0000003, v2
	v_and_b32_e32 v15, 0x3000, v15
	;; [unrolled: 1-line block ×5, first 2 shown]
	v_or3_b32 v2, v2, v16, v15
	v_and_b32_e32 v11, 0x300, v11
	v_and_b32_e32 v12, 0xc000000, v12
	v_or3_b32 v2, v2, v14, v13
	v_and_b32_e32 v9, 0xc0, v9
	v_and_b32_e32 v10, 0x3000000, v10
	v_or3_b32 v2, v2, v12, v11
	v_and_b32_e32 v7, 48, v7
	v_and_b32_e32 v8, 0xc00000, v8
	v_or3_b32 v2, v2, v10, v9
	v_and_b32_e32 v5, 12, v5
	v_and_b32_e32 v6, 0x300000, v6
	v_or3_b32 v2, v2, v8, v7
	v_and_b32_e32 v3, 0x30000, v3
	v_and_b32_e32 v4, 0xc0000, v4
	v_or3_b32 v2, v2, v6, v5
	v_or3_b32 v2, v2, v4, v3
	global_store_dword v[0:1], v2, off
	v_lshl_add_u64 v[0:1], v[0:1], 0, s[0:1]
	s_cbranch_scc1 .LBB9_2
.LBB9_3:
	s_endpgm
	.section	.rodata,"a",@progbits
	.p2align	6, 0x0
	.amdhsa_kernel _ZN4vllm4gptq19shuffle_2bit_kernelEPjii
		.amdhsa_group_segment_fixed_size 0
		.amdhsa_private_segment_fixed_size 0
		.amdhsa_kernarg_size 16
		.amdhsa_user_sgpr_count 2
		.amdhsa_user_sgpr_dispatch_ptr 0
		.amdhsa_user_sgpr_queue_ptr 0
		.amdhsa_user_sgpr_kernarg_segment_ptr 1
		.amdhsa_user_sgpr_dispatch_id 0
		.amdhsa_user_sgpr_kernarg_preload_length 0
		.amdhsa_user_sgpr_kernarg_preload_offset 0
		.amdhsa_user_sgpr_private_segment_size 0
		.amdhsa_uses_dynamic_stack 0
		.amdhsa_enable_private_segment 0
		.amdhsa_system_sgpr_workgroup_id_x 1
		.amdhsa_system_sgpr_workgroup_id_y 0
		.amdhsa_system_sgpr_workgroup_id_z 0
		.amdhsa_system_sgpr_workgroup_info 0
		.amdhsa_system_vgpr_workitem_id 0
		.amdhsa_next_free_vgpr 17
		.amdhsa_next_free_sgpr 10
		.amdhsa_accum_offset 20
		.amdhsa_reserve_vcc 1
		.amdhsa_float_round_mode_32 0
		.amdhsa_float_round_mode_16_64 0
		.amdhsa_float_denorm_mode_32 3
		.amdhsa_float_denorm_mode_16_64 3
		.amdhsa_dx10_clamp 1
		.amdhsa_ieee_mode 1
		.amdhsa_fp16_overflow 0
		.amdhsa_tg_split 0
		.amdhsa_exception_fp_ieee_invalid_op 0
		.amdhsa_exception_fp_denorm_src 0
		.amdhsa_exception_fp_ieee_div_zero 0
		.amdhsa_exception_fp_ieee_overflow 0
		.amdhsa_exception_fp_ieee_underflow 0
		.amdhsa_exception_fp_ieee_inexact 0
		.amdhsa_exception_int_div_zero 0
	.end_amdhsa_kernel
	.text
.Lfunc_end9:
	.size	_ZN4vllm4gptq19shuffle_2bit_kernelEPjii, .Lfunc_end9-_ZN4vllm4gptq19shuffle_2bit_kernelEPjii
                                        ; -- End function
	.set _ZN4vllm4gptq19shuffle_2bit_kernelEPjii.num_vgpr, 17
	.set _ZN4vllm4gptq19shuffle_2bit_kernelEPjii.num_agpr, 0
	.set _ZN4vllm4gptq19shuffle_2bit_kernelEPjii.numbered_sgpr, 10
	.set _ZN4vllm4gptq19shuffle_2bit_kernelEPjii.num_named_barrier, 0
	.set _ZN4vllm4gptq19shuffle_2bit_kernelEPjii.private_seg_size, 0
	.set _ZN4vllm4gptq19shuffle_2bit_kernelEPjii.uses_vcc, 1
	.set _ZN4vllm4gptq19shuffle_2bit_kernelEPjii.uses_flat_scratch, 0
	.set _ZN4vllm4gptq19shuffle_2bit_kernelEPjii.has_dyn_sized_stack, 0
	.set _ZN4vllm4gptq19shuffle_2bit_kernelEPjii.has_recursion, 0
	.set _ZN4vllm4gptq19shuffle_2bit_kernelEPjii.has_indirect_call, 0
	.section	.AMDGPU.csdata,"",@progbits
; Kernel info:
; codeLenInByte = 352
; TotalNumSgprs: 16
; NumVgprs: 17
; NumAgprs: 0
; TotalNumVgprs: 17
; ScratchSize: 0
; MemoryBound: 0
; FloatMode: 240
; IeeeMode: 1
; LDSByteSize: 0 bytes/workgroup (compile time only)
; SGPRBlocks: 1
; VGPRBlocks: 2
; NumSGPRsForWavesPerEU: 16
; NumVGPRsForWavesPerEU: 17
; AccumOffset: 20
; Occupancy: 8
; WaveLimiterHint : 0
; COMPUTE_PGM_RSRC2:SCRATCH_EN: 0
; COMPUTE_PGM_RSRC2:USER_SGPR: 2
; COMPUTE_PGM_RSRC2:TRAP_HANDLER: 0
; COMPUTE_PGM_RSRC2:TGID_X_EN: 1
; COMPUTE_PGM_RSRC2:TGID_Y_EN: 0
; COMPUTE_PGM_RSRC2:TGID_Z_EN: 0
; COMPUTE_PGM_RSRC2:TIDIG_COMP_CNT: 0
; COMPUTE_PGM_RSRC3_GFX90A:ACCUM_OFFSET: 4
; COMPUTE_PGM_RSRC3_GFX90A:TG_SPLIT: 0
	.text
	.protected	_ZN4vllm4gptq19shuffle_3bit_kernelEPjii ; -- Begin function _ZN4vllm4gptq19shuffle_3bit_kernelEPjii
	.globl	_ZN4vllm4gptq19shuffle_3bit_kernelEPjii
	.p2align	8
	.type	_ZN4vllm4gptq19shuffle_3bit_kernelEPjii,@function
_ZN4vllm4gptq19shuffle_3bit_kernelEPjii: ; @_ZN4vllm4gptq19shuffle_3bit_kernelEPjii
; %bb.0:
	s_load_dwordx2 s[4:5], s[0:1], 0x8
	v_lshl_add_u32 v0, s2, 5, v0
	s_mov_b32 s8, 0
	s_waitcnt lgkmcnt(0)
	s_cmp_gt_i32 s4, 0
	v_cmp_gt_u32_e32 vcc, s5, v0
	s_cselect_b64 s[2:3], -1, 0
	s_and_b64 s[2:3], vcc, s[2:3]
	s_and_saveexec_b64 s[6:7], s[2:3]
	s_cbranch_execz .LBB10_3
; %bb.1:
	s_load_dwordx2 s[2:3], s[0:1], 0x0
	v_mov_b32_e32 v1, 0
	s_ashr_i32 s7, s5, 31
	s_mov_b32 s6, s5
	s_lshl_b64 s[0:1], s[6:7], 2
	s_waitcnt lgkmcnt(0)
	v_lshl_add_u64 v[0:1], v[0:1], 2, s[2:3]
	s_lshl_b64 s[2:3], s[6:7], 3
	s_mul_hi_i32 s7, s5, 12
	s_mul_i32 s6, s5, 12
	s_mov_b32 s5, 0x70000
	s_mov_b32 s9, 0x8000
	s_brev_b32 s10, 1
.LBB10_2:                               ; =>This Inner Loop Header: Depth=1
	global_load_dword v6, v[0:1], off
	v_lshl_add_u64 v[2:3], v[0:1], 0, s[0:1]
	v_lshl_add_u64 v[4:5], v[0:1], 0, s[2:3]
	global_load_dword v7, v[2:3], off
	global_load_dword v8, v[4:5], off
	s_add_i32 s8, s8, 32
	s_cmp_lt_i32 s8, s4
	s_waitcnt vmcnt(2)
	v_and_b32_e32 v9, 7, v6
	v_lshlrev_b32_e32 v10, 13, v6
	v_lshrrev_b32_e32 v11, 3, v6
	v_lshlrev_b32_e32 v12, 10, v6
	v_lshrrev_b32_e32 v13, 6, v6
	;; [unrolled: 2-line block ×4, first 2 shown]
	v_lshlrev_b32_e32 v18, 1, v6
	v_and_or_b32 v9, v10, s5, v9
	v_and_b32_e32 v10, 56, v11
	v_and_b32_e32 v11, 0x380000, v12
	s_waitcnt vmcnt(1)
	v_alignbit_b32 v6, v7, v6, 30
	s_waitcnt vmcnt(0)
	v_alignbit_b32 v19, v8, v7, 28
	v_and_b32_e32 v12, 0x1c0, v13
	v_and_b32_e32 v13, 0x1c00000, v14
	;; [unrolled: 1-line block ×3, first 2 shown]
	v_lshrrev_b32_e32 v18, 12, v8
	v_lshlrev_b32_e32 v22, 1, v8
	v_or3_b32 v9, v9, v10, v11
	v_and_b32_e32 v10, 7, v6
	v_lshlrev_b32_e32 v11, 13, v6
	v_and_b32_e32 v14, 0xe00, v15
	v_and_b32_e32 v15, 0xe000000, v16
	;; [unrolled: 1-line block ×3, first 2 shown]
	v_lshrrev_b32_e32 v17, 11, v8
	v_lshrrev_b32_e32 v20, 13, v8
	v_lshlrev_b32_e32 v21, 2, v8
	v_and_b32_e32 v8, 0x80000000, v8
	v_lshrrev_b32_e32 v23, 3, v6
	v_lshlrev_b32_e32 v24, 10, v6
	v_lshrrev_b32_e32 v27, 9, v6
	v_lshlrev_b32_e32 v31, 13, v19
	v_and_b32_e32 v18, 0x8000, v18
	v_or3_b32 v9, v9, v12, v13
	v_and_b32_e32 v11, 0x70000, v11
	v_and_or_b32 v10, v22, s10, v10
	v_lshrrev_b32_e32 v25, 6, v6
	v_lshlrev_b32_e32 v26, 7, v6
	v_lshlrev_b32_e32 v28, 4, v6
	v_lshrrev_b32_e32 v29, 12, v6
	v_and_b32_e32 v30, 7, v19
	v_lshrrev_b32_e32 v32, 3, v19
	v_lshlrev_b32_e32 v33, 10, v19
	v_and_or_b32 v8, v20, s9, v8
	v_and_b32_e32 v12, 56, v23
	v_and_b32_e32 v13, 0x380000, v24
	;; [unrolled: 1-line block ×4, first 2 shown]
	v_or3_b32 v9, v9, v14, v15
	v_or3_b32 v10, v10, v18, v11
	v_lshrrev_b32_e32 v34, 6, v19
	v_lshlrev_b32_e32 v35, 7, v19
	v_and_b32_e32 v20, 0x1c0, v25
	v_and_b32_e32 v23, 0x1c00000, v26
	;; [unrolled: 1-line block ×6, first 2 shown]
	v_or3_b32 v8, v8, v30, v27
	v_or3_b32 v7, v9, v16, v7
	v_or3_b32 v9, v10, v12, v13
	v_lshrrev_b32_e32 v36, 9, v19
	v_lshlrev_b32_e32 v37, 4, v19
	v_lshlrev_b32_e32 v6, 1, v6
	v_and_b32_e32 v17, 0x8000, v17
	v_and_b32_e32 v21, 0x80000000, v21
	v_and_b32_e32 v31, 0x1c0, v34
	v_and_b32_e32 v32, 0x1c00000, v35
	v_or3_b32 v8, v8, v28, v29
	v_or3_b32 v9, v9, v20, v23
	v_lshrrev_b32_e32 v38, 12, v19
	v_lshlrev_b32_e32 v19, 1, v19
	v_and_b32_e32 v33, 0xe00, v36
	v_and_b32_e32 v34, 0xe000000, v37
	;; [unrolled: 1-line block ×3, first 2 shown]
	v_or3_b32 v7, v7, v21, v17
	v_or3_b32 v8, v8, v31, v32
	;; [unrolled: 1-line block ×3, first 2 shown]
	v_and_b32_e32 v35, 0x7000, v38
	v_and_b32_e32 v19, 0x70000000, v19
	v_or3_b32 v8, v8, v33, v34
	global_store_dword v[0:1], v7, off
	v_lshl_add_u64 v[0:1], v[0:1], 0, s[6:7]
	v_or3_b32 v6, v9, v26, v6
	v_or3_b32 v7, v8, v35, v19
	global_store_dword v[2:3], v6, off
	global_store_dword v[4:5], v7, off
	s_cbranch_scc1 .LBB10_2
.LBB10_3:
	s_endpgm
	.section	.rodata,"a",@progbits
	.p2align	6, 0x0
	.amdhsa_kernel _ZN4vllm4gptq19shuffle_3bit_kernelEPjii
		.amdhsa_group_segment_fixed_size 0
		.amdhsa_private_segment_fixed_size 0
		.amdhsa_kernarg_size 16
		.amdhsa_user_sgpr_count 2
		.amdhsa_user_sgpr_dispatch_ptr 0
		.amdhsa_user_sgpr_queue_ptr 0
		.amdhsa_user_sgpr_kernarg_segment_ptr 1
		.amdhsa_user_sgpr_dispatch_id 0
		.amdhsa_user_sgpr_kernarg_preload_length 0
		.amdhsa_user_sgpr_kernarg_preload_offset 0
		.amdhsa_user_sgpr_private_segment_size 0
		.amdhsa_uses_dynamic_stack 0
		.amdhsa_enable_private_segment 0
		.amdhsa_system_sgpr_workgroup_id_x 1
		.amdhsa_system_sgpr_workgroup_id_y 0
		.amdhsa_system_sgpr_workgroup_id_z 0
		.amdhsa_system_sgpr_workgroup_info 0
		.amdhsa_system_vgpr_workitem_id 0
		.amdhsa_next_free_vgpr 39
		.amdhsa_next_free_sgpr 11
		.amdhsa_accum_offset 40
		.amdhsa_reserve_vcc 1
		.amdhsa_float_round_mode_32 0
		.amdhsa_float_round_mode_16_64 0
		.amdhsa_float_denorm_mode_32 3
		.amdhsa_float_denorm_mode_16_64 3
		.amdhsa_dx10_clamp 1
		.amdhsa_ieee_mode 1
		.amdhsa_fp16_overflow 0
		.amdhsa_tg_split 0
		.amdhsa_exception_fp_ieee_invalid_op 0
		.amdhsa_exception_fp_denorm_src 0
		.amdhsa_exception_fp_ieee_div_zero 0
		.amdhsa_exception_fp_ieee_overflow 0
		.amdhsa_exception_fp_ieee_underflow 0
		.amdhsa_exception_fp_ieee_inexact 0
		.amdhsa_exception_int_div_zero 0
	.end_amdhsa_kernel
	.text
.Lfunc_end10:
	.size	_ZN4vllm4gptq19shuffle_3bit_kernelEPjii, .Lfunc_end10-_ZN4vllm4gptq19shuffle_3bit_kernelEPjii
                                        ; -- End function
	.set _ZN4vllm4gptq19shuffle_3bit_kernelEPjii.num_vgpr, 39
	.set _ZN4vllm4gptq19shuffle_3bit_kernelEPjii.num_agpr, 0
	.set _ZN4vllm4gptq19shuffle_3bit_kernelEPjii.numbered_sgpr, 11
	.set _ZN4vllm4gptq19shuffle_3bit_kernelEPjii.num_named_barrier, 0
	.set _ZN4vllm4gptq19shuffle_3bit_kernelEPjii.private_seg_size, 0
	.set _ZN4vllm4gptq19shuffle_3bit_kernelEPjii.uses_vcc, 1
	.set _ZN4vllm4gptq19shuffle_3bit_kernelEPjii.uses_flat_scratch, 0
	.set _ZN4vllm4gptq19shuffle_3bit_kernelEPjii.has_dyn_sized_stack, 0
	.set _ZN4vllm4gptq19shuffle_3bit_kernelEPjii.has_recursion, 0
	.set _ZN4vllm4gptq19shuffle_3bit_kernelEPjii.has_indirect_call, 0
	.section	.AMDGPU.csdata,"",@progbits
; Kernel info:
; codeLenInByte = 744
; TotalNumSgprs: 17
; NumVgprs: 39
; NumAgprs: 0
; TotalNumVgprs: 39
; ScratchSize: 0
; MemoryBound: 0
; FloatMode: 240
; IeeeMode: 1
; LDSByteSize: 0 bytes/workgroup (compile time only)
; SGPRBlocks: 2
; VGPRBlocks: 4
; NumSGPRsForWavesPerEU: 17
; NumVGPRsForWavesPerEU: 39
; AccumOffset: 40
; Occupancy: 8
; WaveLimiterHint : 0
; COMPUTE_PGM_RSRC2:SCRATCH_EN: 0
; COMPUTE_PGM_RSRC2:USER_SGPR: 2
; COMPUTE_PGM_RSRC2:TRAP_HANDLER: 0
; COMPUTE_PGM_RSRC2:TGID_X_EN: 1
; COMPUTE_PGM_RSRC2:TGID_Y_EN: 0
; COMPUTE_PGM_RSRC2:TGID_Z_EN: 0
; COMPUTE_PGM_RSRC2:TIDIG_COMP_CNT: 0
; COMPUTE_PGM_RSRC3_GFX90A:ACCUM_OFFSET: 9
; COMPUTE_PGM_RSRC3_GFX90A:TG_SPLIT: 0
	.text
	.protected	_ZN4vllm4gptq27make_sequential_4bit_kernelEPKjPjPKii ; -- Begin function _ZN4vllm4gptq27make_sequential_4bit_kernelEPKjPjPKii
	.globl	_ZN4vllm4gptq27make_sequential_4bit_kernelEPKjPjPKii
	.p2align	8
	.type	_ZN4vllm4gptq27make_sequential_4bit_kernelEPKjPjPKii,@function
_ZN4vllm4gptq27make_sequential_4bit_kernelEPKjPjPKii: ; @_ZN4vllm4gptq27make_sequential_4bit_kernelEPKjPjPKii
; %bb.0:
	s_load_dword s4, s[0:1], 0x18
	v_lshl_add_u32 v2, s2, 5, v0
	s_waitcnt lgkmcnt(0)
	s_ashr_i32 s16, s4, 1
	v_cmp_gt_u32_e32 vcc, s16, v2
	s_and_saveexec_b64 s[4:5], vcc
	s_cbranch_execz .LBB11_2
; %bb.1:
	s_load_dwordx2 s[4:5], s[0:1], 0x10
	s_lshl_b32 s6, s3, 3
	s_ashr_i32 s7, s6, 31
	s_lshl_b64 s[6:7], s[6:7], 2
	v_mov_b32_e32 v1, 0
	s_waitcnt lgkmcnt(0)
	s_add_u32 s18, s4, s6
	s_addc_u32 s19, s5, s7
	s_load_dwordx8 s[4:11], s[18:19], 0x0
	s_load_dwordx4 s[12:15], s[0:1], 0x0
	v_mov_b32_e32 v5, v1
	v_mov_b32_e32 v9, v1
	s_waitcnt lgkmcnt(0)
	s_ashr_i32 s0, s5, 3
	s_ashr_i32 s1, s4, 3
	s_mul_i32 s0, s0, s16
	s_mul_i32 s1, s1, s16
	v_add_u32_e32 v4, s0, v2
	s_ashr_i32 s0, s7, 3
	v_add_u32_e32 v0, s1, v2
	s_ashr_i32 s1, s6, 3
	s_mul_i32 s0, s0, s16
	s_mul_i32 s1, s1, s16
	v_add_u32_e32 v8, s0, v2
	s_ashr_i32 s0, s9, 3
	v_lshl_add_u64 v[6:7], v[0:1], 3, s[12:13]
	v_lshl_add_u64 v[4:5], v[4:5], 3, s[12:13]
	v_add_u32_e32 v0, s1, v2
	s_ashr_i32 s1, s8, 3
	s_mul_i32 s0, s0, s16
	v_lshl_add_u64 v[10:11], v[0:1], 3, s[12:13]
	v_lshl_add_u64 v[8:9], v[8:9], 3, s[12:13]
	global_load_dwordx2 v[12:13], v[6:7], off
	global_load_dwordx2 v[14:15], v[4:5], off
	;; [unrolled: 1-line block ×4, first 2 shown]
	s_mul_i32 s1, s1, s16
	v_add_u32_e32 v4, s0, v2
	s_ashr_i32 s0, s10, 3
	v_add_u32_e32 v0, s1, v2
	v_mov_b32_e32 v5, v1
	s_mul_i32 s0, s0, s16
	v_lshl_add_u64 v[6:7], v[0:1], 3, s[12:13]
	v_lshl_add_u64 v[4:5], v[4:5], 3, s[12:13]
	v_add_u32_e32 v0, s0, v2
	s_ashr_i32 s0, s11, 3
	global_load_dwordx2 v[8:9], v[6:7], off
	global_load_dwordx2 v[10:11], v[4:5], off
	v_lshl_add_u64 v[4:5], v[0:1], 3, s[12:13]
	s_mul_i32 s0, s0, s16
	global_load_dwordx2 v[4:5], v[4:5], off
	v_add_u32_e32 v6, s0, v2
	v_mov_b32_e32 v7, v1
	v_lshl_add_u64 v[6:7], v[6:7], 3, s[12:13]
	global_load_dwordx2 v[6:7], v[6:7], off
	s_lshl_b32 s0, s4, 2
	s_lshl_b32 s1, s5, 2
	;; [unrolled: 1-line block ×4, first 2 shown]
	s_and_b32 s0, s0, 28
	s_and_b32 s1, s1, 28
	s_lshl_b32 s5, s8, 2
	s_lshl_b32 s6, s9, 2
	s_and_b32 s2, s2, 28
	s_and_b32 s4, s4, 28
	s_lshl_b32 s7, s10, 2
	s_and_b32 s5, s5, 28
	s_and_b32 s6, s6, 28
	;; [unrolled: 1-line block ×3, first 2 shown]
	s_lshl_b32 s8, s11, 2
	s_and_b32 s8, s8, 28
	s_mul_i32 s16, s16, s3
	s_waitcnt vmcnt(7)
	v_lshrrev_b64 v[12:13], s0, v[12:13]
	s_waitcnt vmcnt(6)
	v_lshrrev_b64 v[14:15], s1, v[14:15]
	v_and_b32_e32 v0, 15, v13
	v_and_b32_e32 v3, 15, v12
	v_lshlrev_b64 v[12:13], 4, v[14:15]
	s_waitcnt vmcnt(5)
	v_lshrrev_b64 v[14:15], s2, v[16:17]
	s_waitcnt vmcnt(4)
	v_lshrrev_b64 v[16:17], s4, v[18:19]
	v_and_b32_e32 v18, 0xf0, v13
	v_and_b32_e32 v19, 0xf0, v12
	v_lshlrev_b64 v[12:13], 8, v[14:15]
	v_lshlrev_b64 v[14:15], 12, v[16:17]
	v_or_b32_e32 v0, v18, v0
	v_or_b32_e32 v3, v19, v3
	s_waitcnt vmcnt(3)
	v_lshrrev_b64 v[8:9], s5, v[8:9]
	s_waitcnt vmcnt(2)
	v_lshrrev_b64 v[10:11], s6, v[10:11]
	v_and_b32_e32 v13, 0xf00, v13
	v_and_b32_e32 v12, 0xf00, v12
	;; [unrolled: 1-line block ×4, first 2 shown]
	v_lshlrev_b64 v[8:9], 16, v[8:9]
	v_lshlrev_b64 v[10:11], 20, v[10:11]
	s_waitcnt vmcnt(1)
	v_lshrrev_b64 v[4:5], s7, v[4:5]
	v_or3_b32 v0, v13, v0, v15
	v_or3_b32 v3, v12, v3, v14
	v_and_b32_e32 v9, 0xf0000, v9
	v_and_b32_e32 v8, 0xf0000, v8
	v_and_b32_e32 v11, 0xf00000, v11
	v_and_b32_e32 v10, 0xf00000, v10
	v_lshlrev_b64 v[4:5], 24, v[4:5]
	v_or3_b32 v0, v9, v0, v11
	v_or3_b32 v3, v8, v3, v10
	v_and_b32_e32 v8, 0xf000000, v5
	v_and_b32_e32 v9, 0xf000000, v4
	s_waitcnt vmcnt(0)
	v_lshrrev_b64 v[4:5], s8, v[6:7]
	v_lshlrev_b64 v[4:5], 28, v[4:5]
	v_and_b32_e32 v5, 0xf0000000, v5
	v_or3_b32 v5, v8, v0, v5
	v_add_u32_e32 v0, s16, v2
	v_or3_b32 v4, v9, v3, v4
	v_lshl_add_u64 v[0:1], v[0:1], 3, s[14:15]
	global_store_dwordx2 v[0:1], v[4:5], off
.LBB11_2:
	s_endpgm
	.section	.rodata,"a",@progbits
	.p2align	6, 0x0
	.amdhsa_kernel _ZN4vllm4gptq27make_sequential_4bit_kernelEPKjPjPKii
		.amdhsa_group_segment_fixed_size 0
		.amdhsa_private_segment_fixed_size 0
		.amdhsa_kernarg_size 28
		.amdhsa_user_sgpr_count 2
		.amdhsa_user_sgpr_dispatch_ptr 0
		.amdhsa_user_sgpr_queue_ptr 0
		.amdhsa_user_sgpr_kernarg_segment_ptr 1
		.amdhsa_user_sgpr_dispatch_id 0
		.amdhsa_user_sgpr_kernarg_preload_length 0
		.amdhsa_user_sgpr_kernarg_preload_offset 0
		.amdhsa_user_sgpr_private_segment_size 0
		.amdhsa_uses_dynamic_stack 0
		.amdhsa_enable_private_segment 0
		.amdhsa_system_sgpr_workgroup_id_x 1
		.amdhsa_system_sgpr_workgroup_id_y 1
		.amdhsa_system_sgpr_workgroup_id_z 0
		.amdhsa_system_sgpr_workgroup_info 0
		.amdhsa_system_vgpr_workitem_id 0
		.amdhsa_next_free_vgpr 20
		.amdhsa_next_free_sgpr 20
		.amdhsa_accum_offset 20
		.amdhsa_reserve_vcc 1
		.amdhsa_float_round_mode_32 0
		.amdhsa_float_round_mode_16_64 0
		.amdhsa_float_denorm_mode_32 3
		.amdhsa_float_denorm_mode_16_64 3
		.amdhsa_dx10_clamp 1
		.amdhsa_ieee_mode 1
		.amdhsa_fp16_overflow 0
		.amdhsa_tg_split 0
		.amdhsa_exception_fp_ieee_invalid_op 0
		.amdhsa_exception_fp_denorm_src 0
		.amdhsa_exception_fp_ieee_div_zero 0
		.amdhsa_exception_fp_ieee_overflow 0
		.amdhsa_exception_fp_ieee_underflow 0
		.amdhsa_exception_fp_ieee_inexact 0
		.amdhsa_exception_int_div_zero 0
	.end_amdhsa_kernel
	.text
.Lfunc_end11:
	.size	_ZN4vllm4gptq27make_sequential_4bit_kernelEPKjPjPKii, .Lfunc_end11-_ZN4vllm4gptq27make_sequential_4bit_kernelEPKjPjPKii
                                        ; -- End function
	.set _ZN4vllm4gptq27make_sequential_4bit_kernelEPKjPjPKii.num_vgpr, 20
	.set _ZN4vllm4gptq27make_sequential_4bit_kernelEPKjPjPKii.num_agpr, 0
	.set _ZN4vllm4gptq27make_sequential_4bit_kernelEPKjPjPKii.numbered_sgpr, 20
	.set _ZN4vllm4gptq27make_sequential_4bit_kernelEPKjPjPKii.num_named_barrier, 0
	.set _ZN4vllm4gptq27make_sequential_4bit_kernelEPKjPjPKii.private_seg_size, 0
	.set _ZN4vllm4gptq27make_sequential_4bit_kernelEPKjPjPKii.uses_vcc, 1
	.set _ZN4vllm4gptq27make_sequential_4bit_kernelEPKjPjPKii.uses_flat_scratch, 0
	.set _ZN4vllm4gptq27make_sequential_4bit_kernelEPKjPjPKii.has_dyn_sized_stack, 0
	.set _ZN4vllm4gptq27make_sequential_4bit_kernelEPKjPjPKii.has_recursion, 0
	.set _ZN4vllm4gptq27make_sequential_4bit_kernelEPKjPjPKii.has_indirect_call, 0
	.section	.AMDGPU.csdata,"",@progbits
; Kernel info:
; codeLenInByte = 744
; TotalNumSgprs: 26
; NumVgprs: 20
; NumAgprs: 0
; TotalNumVgprs: 20
; ScratchSize: 0
; MemoryBound: 0
; FloatMode: 240
; IeeeMode: 1
; LDSByteSize: 0 bytes/workgroup (compile time only)
; SGPRBlocks: 3
; VGPRBlocks: 2
; NumSGPRsForWavesPerEU: 26
; NumVGPRsForWavesPerEU: 20
; AccumOffset: 20
; Occupancy: 8
; WaveLimiterHint : 0
; COMPUTE_PGM_RSRC2:SCRATCH_EN: 0
; COMPUTE_PGM_RSRC2:USER_SGPR: 2
; COMPUTE_PGM_RSRC2:TRAP_HANDLER: 0
; COMPUTE_PGM_RSRC2:TGID_X_EN: 1
; COMPUTE_PGM_RSRC2:TGID_Y_EN: 1
; COMPUTE_PGM_RSRC2:TGID_Z_EN: 0
; COMPUTE_PGM_RSRC2:TIDIG_COMP_CNT: 0
; COMPUTE_PGM_RSRC3_GFX90A:ACCUM_OFFSET: 4
; COMPUTE_PGM_RSRC3_GFX90A:TG_SPLIT: 0
	.text
	.protected	_ZN4vllm4gptq27make_sequential_2bit_kernelEPKjPjPKii ; -- Begin function _ZN4vllm4gptq27make_sequential_2bit_kernelEPKjPjPKii
	.globl	_ZN4vllm4gptq27make_sequential_2bit_kernelEPKjPjPKii
	.p2align	8
	.type	_ZN4vllm4gptq27make_sequential_2bit_kernelEPKjPjPKii,@function
_ZN4vllm4gptq27make_sequential_2bit_kernelEPKjPjPKii: ; @_ZN4vllm4gptq27make_sequential_2bit_kernelEPKjPjPKii
; %bb.0:
	s_load_dword s4, s[0:1], 0x18
	v_lshl_add_u32 v10, s2, 5, v0
	s_waitcnt lgkmcnt(0)
	s_ashr_i32 s24, s4, 1
	v_cmp_gt_u32_e32 vcc, s24, v10
	s_and_saveexec_b64 s[4:5], vcc
	s_cbranch_execz .LBB12_2
; %bb.1:
	s_load_dwordx2 s[4:5], s[0:1], 0x10
	s_lshl_b32 s6, s3, 4
	s_ashr_i32 s7, s6, 31
	s_lshl_b64 s[6:7], s[6:7], 2
	v_mov_b32_e32 v1, 0
	s_waitcnt lgkmcnt(0)
	s_add_u32 s26, s4, s6
	s_addc_u32 s27, s5, s7
	s_load_dwordx16 s[4:19], s[26:27], 0x0
	s_load_dwordx4 s[20:23], s[0:1], 0x0
	v_mov_b32_e32 v3, v1
	v_mov_b32_e32 v17, v1
	v_mov_b32_e32 v19, v1
	s_waitcnt lgkmcnt(0)
	s_ashr_i32 s1, s4, 4
	s_ashr_i32 s0, s5, 4
	s_mul_i32 s1, s1, s24
	s_mul_i32 s0, s0, s24
	v_add_u32_e32 v0, s1, v10
	s_ashr_i32 s1, s6, 4
	v_add_u32_e32 v2, s0, v10
	v_lshl_add_u64 v[6:7], v[0:1], 3, s[20:21]
	s_ashr_i32 s0, s7, 4
	s_mul_i32 s1, s1, s24
	v_lshl_add_u64 v[8:9], v[2:3], 3, s[20:21]
	global_load_dwordx2 v[2:3], v[6:7], off
	global_load_dwordx2 v[4:5], v[8:9], off
	s_mul_i32 s0, s0, s24
	v_add_u32_e32 v0, s1, v10
	v_add_u32_e32 v6, s0, v10
	v_lshl_add_u64 v[12:13], v[0:1], 3, s[20:21]
	v_mov_b32_e32 v7, v1
	v_lshl_add_u64 v[14:15], v[6:7], 3, s[20:21]
	global_load_dwordx2 v[6:7], v[12:13], off
	global_load_dwordx2 v[8:9], v[14:15], off
	s_lshl_b32 s2, s6, 1
	s_ashr_i32 s6, s8, 4
	s_mul_i32 s6, s6, s24
	s_lshl_b32 s1, s5, 1
	s_ashr_i32 s5, s9, 4
	v_add_u32_e32 v0, s6, v10
	v_lshl_add_u64 v[20:21], v[0:1], 3, s[20:21]
	s_mul_i32 s5, s5, s24
	v_mov_b32_e32 v13, v1
	global_load_dwordx2 v[20:21], v[20:21], off
	v_add_u32_e32 v12, s5, v10
	s_ashr_i32 s25, s10, 4
	v_lshl_add_u64 v[12:13], v[12:13], 3, s[20:21]
	global_load_dwordx2 v[12:13], v[12:13], off
	s_mul_i32 s25, s25, s24
	s_lshl_b32 s0, s4, 1
	s_lshl_b32 s4, s7, 1
	s_ashr_i32 s7, s11, 4
	v_add_u32_e32 v0, s25, v10
	v_lshl_add_u64 v[22:23], v[0:1], 3, s[20:21]
	s_mul_i32 s7, s7, s24
	v_mov_b32_e32 v15, v1
	global_load_dwordx2 v[22:23], v[22:23], off
	v_add_u32_e32 v14, s7, v10
	s_ashr_i32 s26, s12, 4
	v_lshl_add_u64 v[14:15], v[14:15], 3, s[20:21]
	global_load_dwordx2 v[14:15], v[14:15], off
	s_mul_i32 s26, s26, s24
	s_ashr_i32 s6, s13, 4
	v_add_u32_e32 v0, s26, v10
	s_mul_i32 s6, s6, s24
	v_lshl_add_u64 v[24:25], v[0:1], 3, s[20:21]
	global_load_dwordx2 v[24:25], v[24:25], off
	v_add_u32_e32 v16, s6, v10
	v_lshl_add_u64 v[16:17], v[16:17], 3, s[20:21]
	s_ashr_i32 s27, s14, 4
	global_load_dwordx2 v[16:17], v[16:17], off
	s_ashr_i32 s5, s15, 4
	s_and_b32 s0, s0, 30
	s_and_b32 s1, s1, 30
	s_mul_i32 s27, s27, s24
	s_mul_i32 s5, s5, s24
	v_add_u32_e32 v0, s27, v10
	s_ashr_i32 s28, s16, 4
	s_and_b32 s2, s2, 30
	s_and_b32 s4, s4, 30
	v_add_u32_e32 v18, s5, v10
	v_lshl_add_u64 v[26:27], v[0:1], 3, s[20:21]
	s_mul_i32 s28, s28, s24
	v_lshl_add_u64 v[18:19], v[18:19], 3, s[20:21]
	global_load_dwordx2 v[28:29], v[26:27], off
	global_load_dwordx2 v[30:31], v[18:19], off
	s_waitcnt vmcnt(11)
	v_lshrrev_b64 v[2:3], s0, v[2:3]
	s_waitcnt vmcnt(10)
	v_lshrrev_b64 v[4:5], s1, v[4:5]
	v_and_b32_e32 v0, 3, v3
	v_and_b32_e32 v11, 3, v2
	v_lshlrev_b64 v[2:3], 2, v[4:5]
	s_ashr_i32 s0, s17, 4
	s_mul_i32 s0, s0, s24
	s_waitcnt vmcnt(9)
	v_lshrrev_b64 v[4:5], s2, v[6:7]
	s_waitcnt vmcnt(8)
	v_lshrrev_b64 v[6:7], s4, v[8:9]
	v_and_b32_e32 v8, 12, v3
	v_and_b32_e32 v9, 12, v2
	v_lshlrev_b64 v[2:3], 4, v[4:5]
	v_or_b32_e32 v8, v8, v0
	v_add_u32_e32 v0, s28, v10
	v_lshlrev_b64 v[4:5], 6, v[6:7]
	v_or_b32_e32 v11, v9, v11
	v_and_b32_e32 v9, 48, v3
	v_and_b32_e32 v18, 48, v2
	v_lshl_add_u64 v[2:3], v[0:1], 3, s[20:21]
	v_add_u32_e32 v6, s0, v10
	s_ashr_i32 s0, s18, 4
	global_load_dwordx2 v[2:3], v[2:3], off
	v_mov_b32_e32 v7, v1
	v_and_b32_e32 v0, 0xc0, v5
	s_mul_i32 s0, s0, s24
	v_lshl_add_u64 v[6:7], v[6:7], 3, s[20:21]
	v_or3_b32 v26, v9, v8, v0
	v_add_u32_e32 v0, s0, v10
	s_ashr_i32 s0, s19, 4
	global_load_dwordx2 v[6:7], v[6:7], off
	s_mul_i32 s0, s0, s24
	v_add_u32_e32 v8, s0, v10
	v_mov_b32_e32 v9, v1
	v_and_b32_e32 v19, 0xc0, v4
	v_lshl_add_u64 v[4:5], v[0:1], 3, s[20:21]
	v_lshl_add_u64 v[8:9], v[8:9], 3, s[20:21]
	global_load_dwordx2 v[8:9], v[8:9], off
	s_lshl_b32 s0, s8, 1
	global_load_dwordx2 v[4:5], v[4:5], off
	s_and_b32 s0, s0, 30
	v_or3_b32 v0, v18, v11, v19
	s_waitcnt vmcnt(11)
	v_lshrrev_b64 v[18:19], s0, v[20:21]
	s_lshl_b32 s0, s9, 1
	s_and_b32 s0, s0, 30
	s_waitcnt vmcnt(10)
	v_lshrrev_b64 v[12:13], s0, v[12:13]
	v_lshlrev_b64 v[18:19], 8, v[18:19]
	v_lshlrev_b64 v[12:13], 10, v[12:13]
	s_lshl_b32 s0, s10, 1
	v_and_b32_e32 v11, 0x300, v19
	v_and_b32_e32 v18, 0x300, v18
	;; [unrolled: 1-line block ×4, first 2 shown]
	s_and_b32 s0, s0, 30
	v_or3_b32 v11, v11, v26, v13
	v_or3_b32 v0, v18, v0, v12
	s_waitcnt vmcnt(9)
	v_lshrrev_b64 v[12:13], s0, v[22:23]
	s_lshl_b32 s0, s11, 1
	v_lshlrev_b64 v[12:13], 12, v[12:13]
	s_and_b32 s0, s0, 30
	v_and_b32_e32 v18, 0x3000, v13
	v_and_b32_e32 v19, 0x3000, v12
	s_waitcnt vmcnt(8)
	v_lshrrev_b64 v[12:13], s0, v[14:15]
	v_lshlrev_b64 v[12:13], 14, v[12:13]
	s_lshl_b32 s0, s12, 1
	v_and_b32_e32 v13, 0xc000, v13
	v_and_b32_e32 v12, 0xc000, v12
	s_and_b32 s0, s0, 30
	v_or3_b32 v11, v18, v11, v13
	v_or3_b32 v0, v19, v0, v12
	s_waitcnt vmcnt(7)
	v_lshrrev_b64 v[12:13], s0, v[24:25]
	s_lshl_b32 s0, s13, 1
	v_lshlrev_b64 v[12:13], 16, v[12:13]
	s_and_b32 s0, s0, 30
	v_and_b32_e32 v14, 0x30000, v13
	v_and_b32_e32 v15, 0x30000, v12
	s_waitcnt vmcnt(6)
	v_lshrrev_b64 v[12:13], s0, v[16:17]
	v_lshlrev_b64 v[12:13], 18, v[12:13]
	s_lshl_b32 s0, s14, 1
	v_and_b32_e32 v13, 0xc0000, v13
	v_and_b32_e32 v12, 0xc0000, v12
	s_and_b32 s0, s0, 30
	v_or3_b32 v11, v14, v11, v13
	v_or3_b32 v0, v15, v0, v12
	s_waitcnt vmcnt(5)
	v_lshrrev_b64 v[12:13], s0, v[28:29]
	s_lshl_b32 s0, s15, 1
	v_lshlrev_b64 v[12:13], 20, v[12:13]
	s_and_b32 s0, s0, 30
	v_and_b32_e32 v14, 0x300000, v13
	v_and_b32_e32 v15, 0x300000, v12
	s_waitcnt vmcnt(4)
	v_lshrrev_b64 v[12:13], s0, v[30:31]
	s_lshl_b32 s0, s16, 1
	s_and_b32 s0, s0, 30
	v_lshlrev_b64 v[12:13], 22, v[12:13]
	v_and_b32_e32 v13, 0xc00000, v13
	v_and_b32_e32 v12, 0xc00000, v12
	v_or3_b32 v11, v14, v11, v13
	v_or3_b32 v0, v15, v0, v12
	s_mul_i32 s24, s24, s3
	s_waitcnt vmcnt(3)
	v_lshrrev_b64 v[2:3], s0, v[2:3]
	s_lshl_b32 s0, s17, 1
	v_lshlrev_b64 v[2:3], 24, v[2:3]
	s_and_b32 s0, s0, 30
	v_and_b32_e32 v12, 0x3000000, v3
	v_and_b32_e32 v13, 0x3000000, v2
	s_waitcnt vmcnt(2)
	v_lshrrev_b64 v[2:3], s0, v[6:7]
	v_lshlrev_b64 v[2:3], 26, v[2:3]
	s_lshl_b32 s0, s18, 1
	v_and_b32_e32 v3, 0xc000000, v3
	v_and_b32_e32 v2, 0xc000000, v2
	s_and_b32 s0, s0, 30
	v_or3_b32 v6, v12, v11, v3
	v_or3_b32 v0, v13, v0, v2
	s_waitcnt vmcnt(0)
	v_lshrrev_b64 v[2:3], s0, v[4:5]
	s_lshl_b32 s0, s19, 1
	v_lshlrev_b64 v[2:3], 28, v[2:3]
	s_and_b32 s0, s0, 30
	v_and_b32_e32 v4, 0x30000000, v3
	v_and_b32_e32 v5, 0x30000000, v2
	v_lshrrev_b64 v[2:3], s0, v[8:9]
	v_lshlrev_b64 v[2:3], 30, v[2:3]
	v_and_b32_e32 v3, -2.0, v3
	v_or3_b32 v2, v5, v0, v2
	v_add_u32_e32 v0, s24, v10
	v_or3_b32 v3, v4, v6, v3
	v_lshl_add_u64 v[0:1], v[0:1], 3, s[22:23]
	global_store_dwordx2 v[0:1], v[2:3], off
.LBB12_2:
	s_endpgm
	.section	.rodata,"a",@progbits
	.p2align	6, 0x0
	.amdhsa_kernel _ZN4vllm4gptq27make_sequential_2bit_kernelEPKjPjPKii
		.amdhsa_group_segment_fixed_size 0
		.amdhsa_private_segment_fixed_size 0
		.amdhsa_kernarg_size 28
		.amdhsa_user_sgpr_count 2
		.amdhsa_user_sgpr_dispatch_ptr 0
		.amdhsa_user_sgpr_queue_ptr 0
		.amdhsa_user_sgpr_kernarg_segment_ptr 1
		.amdhsa_user_sgpr_dispatch_id 0
		.amdhsa_user_sgpr_kernarg_preload_length 0
		.amdhsa_user_sgpr_kernarg_preload_offset 0
		.amdhsa_user_sgpr_private_segment_size 0
		.amdhsa_uses_dynamic_stack 0
		.amdhsa_enable_private_segment 0
		.amdhsa_system_sgpr_workgroup_id_x 1
		.amdhsa_system_sgpr_workgroup_id_y 1
		.amdhsa_system_sgpr_workgroup_id_z 0
		.amdhsa_system_sgpr_workgroup_info 0
		.amdhsa_system_vgpr_workitem_id 0
		.amdhsa_next_free_vgpr 32
		.amdhsa_next_free_sgpr 29
		.amdhsa_accum_offset 32
		.amdhsa_reserve_vcc 1
		.amdhsa_float_round_mode_32 0
		.amdhsa_float_round_mode_16_64 0
		.amdhsa_float_denorm_mode_32 3
		.amdhsa_float_denorm_mode_16_64 3
		.amdhsa_dx10_clamp 1
		.amdhsa_ieee_mode 1
		.amdhsa_fp16_overflow 0
		.amdhsa_tg_split 0
		.amdhsa_exception_fp_ieee_invalid_op 0
		.amdhsa_exception_fp_denorm_src 0
		.amdhsa_exception_fp_ieee_div_zero 0
		.amdhsa_exception_fp_ieee_overflow 0
		.amdhsa_exception_fp_ieee_underflow 0
		.amdhsa_exception_fp_ieee_inexact 0
		.amdhsa_exception_int_div_zero 0
	.end_amdhsa_kernel
	.text
.Lfunc_end12:
	.size	_ZN4vllm4gptq27make_sequential_2bit_kernelEPKjPjPKii, .Lfunc_end12-_ZN4vllm4gptq27make_sequential_2bit_kernelEPKjPjPKii
                                        ; -- End function
	.set _ZN4vllm4gptq27make_sequential_2bit_kernelEPKjPjPKii.num_vgpr, 32
	.set _ZN4vllm4gptq27make_sequential_2bit_kernelEPKjPjPKii.num_agpr, 0
	.set _ZN4vllm4gptq27make_sequential_2bit_kernelEPKjPjPKii.numbered_sgpr, 29
	.set _ZN4vllm4gptq27make_sequential_2bit_kernelEPKjPjPKii.num_named_barrier, 0
	.set _ZN4vllm4gptq27make_sequential_2bit_kernelEPKjPjPKii.private_seg_size, 0
	.set _ZN4vllm4gptq27make_sequential_2bit_kernelEPKjPjPKii.uses_vcc, 1
	.set _ZN4vllm4gptq27make_sequential_2bit_kernelEPKjPjPKii.uses_flat_scratch, 0
	.set _ZN4vllm4gptq27make_sequential_2bit_kernelEPKjPjPKii.has_dyn_sized_stack, 0
	.set _ZN4vllm4gptq27make_sequential_2bit_kernelEPKjPjPKii.has_recursion, 0
	.set _ZN4vllm4gptq27make_sequential_2bit_kernelEPKjPjPKii.has_indirect_call, 0
	.section	.AMDGPU.csdata,"",@progbits
; Kernel info:
; codeLenInByte = 1376
; TotalNumSgprs: 35
; NumVgprs: 32
; NumAgprs: 0
; TotalNumVgprs: 32
; ScratchSize: 0
; MemoryBound: 0
; FloatMode: 240
; IeeeMode: 1
; LDSByteSize: 0 bytes/workgroup (compile time only)
; SGPRBlocks: 4
; VGPRBlocks: 3
; NumSGPRsForWavesPerEU: 35
; NumVGPRsForWavesPerEU: 32
; AccumOffset: 32
; Occupancy: 8
; WaveLimiterHint : 0
; COMPUTE_PGM_RSRC2:SCRATCH_EN: 0
; COMPUTE_PGM_RSRC2:USER_SGPR: 2
; COMPUTE_PGM_RSRC2:TRAP_HANDLER: 0
; COMPUTE_PGM_RSRC2:TGID_X_EN: 1
; COMPUTE_PGM_RSRC2:TGID_Y_EN: 1
; COMPUTE_PGM_RSRC2:TGID_Z_EN: 0
; COMPUTE_PGM_RSRC2:TIDIG_COMP_CNT: 0
; COMPUTE_PGM_RSRC3_GFX90A:ACCUM_OFFSET: 7
; COMPUTE_PGM_RSRC3_GFX90A:TG_SPLIT: 0
	.text
	.protected	_ZN4vllm4gptq27make_sequential_3bit_kernelEPKjPjPKii ; -- Begin function _ZN4vllm4gptq27make_sequential_3bit_kernelEPKjPjPKii
	.globl	_ZN4vllm4gptq27make_sequential_3bit_kernelEPKjPjPKii
	.p2align	8
	.type	_ZN4vllm4gptq27make_sequential_3bit_kernelEPKjPjPKii,@function
_ZN4vllm4gptq27make_sequential_3bit_kernelEPKjPjPKii: ; @_ZN4vllm4gptq27make_sequential_3bit_kernelEPKjPjPKii
; %bb.0:
	s_load_dword s14, s[0:1], 0x18
	v_lshl_add_u32 v0, s2, 5, v0
	s_waitcnt lgkmcnt(0)
	v_cmp_gt_u32_e32 vcc, s14, v0
	s_and_saveexec_b64 s[4:5], vcc
	s_cbranch_execz .LBB13_801
; %bb.1:
	s_load_dwordx4 s[4:7], s[0:1], 0x0
	s_load_dwordx2 s[8:9], s[0:1], 0x10
	s_lshl_b32 s0, s3, 5
	s_mov_b32 s1, 0
	s_lshl_b64 s[0:1], s[0:1], 2
	s_waitcnt lgkmcnt(0)
	s_add_u32 s0, s8, s0
	s_addc_u32 s1, s9, s1
	s_load_dword s2, s[0:1], 0x0
	s_waitcnt lgkmcnt(0)
	s_ashr_i32 s8, s2, 31
	s_lshr_b32 s8, s8, 27
	s_add_i32 s8, s2, s8
	s_ashr_i32 s12, s8, 5
	s_andn2_b32 s8, s8, 31
	s_sub_i32 s15, s2, s8
	s_cmp_lt_i32 s15, 21
	s_mul_i32 s12, s12, 3
	s_cbranch_scc1 .LBB13_4
; %bb.2:
	s_cmp_eq_u32 s15, 21
	s_cbranch_scc0 .LBB13_5
; %bb.3:
	s_add_i32 s2, s12, 1
	s_mov_b64 s[8:9], 0
	s_branch .LBB13_6
.LBB13_4:
	s_mov_b64 s[8:9], 0
                                        ; implicit-def: $sgpr2
	s_cbranch_execnz .LBB13_7
	s_branch .LBB13_8
.LBB13_5:
	s_mov_b64 s[8:9], -1
                                        ; implicit-def: $sgpr2
.LBB13_6:
	s_branch .LBB13_8
.LBB13_7:
	s_cmp_lg_u32 s15, 10
	s_cselect_b64 s[8:9], -1, 0
	s_mov_b32 s2, s12
.LBB13_8:
	s_andn2_b64 vcc, exec, s[8:9]
                                        ; implicit-def: $sgpr16
	s_cbranch_vccnz .LBB13_15
; %bb.9:
	s_cmp_lt_i32 s15, 22
	s_mul_i32 s10, s15, 3
	s_cbranch_scc0 .LBB13_13
; %bb.10:
	s_cmp_lt_i32 s15, 11
	s_mov_b32 s16, s10
	s_mov_b32 s2, s12
	s_cbranch_scc1 .LBB13_12
; %bb.11:
	s_sub_i32 s16, s10, 32
	s_add_i32 s2, s12, 1
.LBB13_12:
	s_cbranch_execz .LBB13_14
	s_branch .LBB13_15
.LBB13_13:
                                        ; implicit-def: $sgpr16
                                        ; implicit-def: $sgpr2
.LBB13_14:
	s_sub_i32 s16, s10, 64
	s_add_i32 s2, s12, 2
.LBB13_15:
	s_mul_i32 s8, s2, s14
	v_add_u32_e32 v2, s8, v0
	v_mov_b32_e32 v3, 0
	v_lshl_add_u64 v[2:3], v[2:3], 2, s[4:5]
	global_load_dword v2, v[2:3], off
	s_cmp_lt_i32 s15, 21
	s_mov_b64 s[8:9], 0
	s_cbranch_scc1 .LBB13_18
; %bb.16:
	s_cmp_eq_u32 s15, 21
	s_cbranch_scc0 .LBB13_19
; %bb.17:
	s_add_i32 s10, s2, 1
	s_mul_i32 s10, s10, s14
	v_add_u32_e32 v4, s10, v0
	v_mov_b32_e32 v5, 0
	v_lshl_add_u64 v[4:5], v[4:5], 2, s[4:5]
	global_load_dword v1, v[4:5], off
	s_mov_b64 s[10:11], 0
	s_waitcnt vmcnt(0)
	v_alignbit_b32 v1, v1, v2, 31
	v_and_b32_e32 v1, 7, v1
	s_branch .LBB13_20
.LBB13_18:
                                        ; implicit-def: $vgpr1
	s_mov_b64 s[10:11], 0
	s_cbranch_execnz .LBB13_21
	s_branch .LBB13_22
.LBB13_19:
	s_mov_b64 s[10:11], -1
                                        ; implicit-def: $vgpr1
.LBB13_20:
	s_branch .LBB13_22
.LBB13_21:
	s_cmp_lg_u32 s15, 10
	s_mov_b64 s[8:9], -1
	s_cselect_b64 s[10:11], -1, 0
.LBB13_22:
	s_andn2_b64 vcc, exec, s[10:11]
	s_cbranch_vccz .LBB13_28
; %bb.23:
	s_andn2_b64 vcc, exec, s[8:9]
	s_cbranch_vccnz .LBB13_25
.LBB13_24:
	s_add_i32 s2, s2, 1
	s_mul_i32 s2, s2, s14
	v_add_u32_e32 v4, s2, v0
	v_mov_b32_e32 v5, 0
	v_lshl_add_u64 v[4:5], v[4:5], 2, s[4:5]
	global_load_dword v1, v[4:5], off
	s_waitcnt vmcnt(0)
	v_alignbit_b32 v1, v1, v2, 30
	v_and_b32_e32 v1, 7, v1
.LBB13_25:
	s_load_dword s2, s[0:1], 0x4
	s_waitcnt lgkmcnt(0)
	s_ashr_i32 s8, s2, 31
	s_lshr_b32 s8, s8, 27
	s_add_i32 s8, s2, s8
	s_ashr_i32 s12, s8, 5
	s_andn2_b32 s8, s8, 31
	s_sub_i32 s15, s2, s8
	s_cmp_lt_i32 s15, 21
	s_mul_i32 s12, s12, 3
	s_cbranch_scc1 .LBB13_29
; %bb.26:
	s_cmp_eq_u32 s15, 21
	s_cbranch_scc0 .LBB13_30
; %bb.27:
	s_add_i32 s2, s12, 1
	s_mov_b64 s[8:9], 0
	s_branch .LBB13_31
.LBB13_28:
	v_mov_b32_e32 v3, 0
	s_waitcnt vmcnt(0)
	v_lshrrev_b64 v[4:5], s16, v[2:3]
	v_and_b32_e32 v1, 7, v4
	s_cbranch_execz .LBB13_24
	s_branch .LBB13_25
.LBB13_29:
	s_mov_b64 s[8:9], 0
                                        ; implicit-def: $sgpr2
	s_cbranch_execnz .LBB13_32
	s_branch .LBB13_33
.LBB13_30:
	s_mov_b64 s[8:9], -1
                                        ; implicit-def: $sgpr2
.LBB13_31:
	s_branch .LBB13_33
.LBB13_32:
	s_cmp_lg_u32 s15, 10
	s_cselect_b64 s[8:9], -1, 0
	s_mov_b32 s2, s12
.LBB13_33:
	s_andn2_b64 vcc, exec, s[8:9]
	s_mov_b32 s16, 0
	s_cbranch_vccnz .LBB13_40
; %bb.34:
	s_cmp_gt_i32 s15, 21
	s_mul_i32 s10, s15, 3
	s_cbranch_scc1 .LBB13_38
; %bb.35:
	s_cmp_lt_i32 s15, 11
	s_mov_b32 s16, s10
	s_mov_b32 s2, s12
	s_cbranch_scc1 .LBB13_37
; %bb.36:
	s_sub_i32 s16, s10, 32
	s_add_i32 s2, s12, 1
.LBB13_37:
	s_cbranch_execz .LBB13_39
	s_branch .LBB13_40
.LBB13_38:
                                        ; implicit-def: $sgpr16
                                        ; implicit-def: $sgpr2
.LBB13_39:
	s_sub_i32 s16, s10, 64
	s_add_i32 s2, s12, 2
.LBB13_40:
	s_mul_i32 s8, s2, s14
	s_waitcnt vmcnt(0)
	v_add_u32_e32 v2, s8, v0
	v_mov_b32_e32 v3, 0
	v_lshl_add_u64 v[2:3], v[2:3], 2, s[4:5]
	global_load_dword v2, v[2:3], off
	s_cmp_lt_i32 s15, 21
	s_mov_b64 s[8:9], 0
	s_cbranch_scc1 .LBB13_43
; %bb.41:
	s_cmp_eq_u32 s15, 21
	s_cbranch_scc0 .LBB13_44
; %bb.42:
	s_add_i32 s10, s2, 1
	s_mul_i32 s10, s10, s14
	v_add_u32_e32 v4, s10, v0
	v_mov_b32_e32 v5, 0
	v_lshl_add_u64 v[4:5], v[4:5], 2, s[4:5]
	global_load_dword v3, v[4:5], off
	s_mov_b64 s[10:11], 0
	s_waitcnt vmcnt(0)
	v_alignbit_b32 v3, v3, v2, 31
	v_and_b32_e32 v6, 7, v3
	s_branch .LBB13_45
.LBB13_43:
                                        ; implicit-def: $vgpr6
	s_mov_b64 s[10:11], 0
	s_cbranch_execnz .LBB13_46
	s_branch .LBB13_47
.LBB13_44:
	s_mov_b64 s[10:11], -1
                                        ; implicit-def: $vgpr6
.LBB13_45:
	s_branch .LBB13_47
.LBB13_46:
	s_cmp_lg_u32 s15, 10
	s_mov_b64 s[8:9], -1
	s_cselect_b64 s[10:11], -1, 0
.LBB13_47:
	s_andn2_b64 vcc, exec, s[10:11]
	s_cbranch_vccz .LBB13_53
; %bb.48:
	s_andn2_b64 vcc, exec, s[8:9]
	s_cbranch_vccnz .LBB13_50
.LBB13_49:
	s_add_i32 s2, s2, 1
	s_mul_i32 s2, s2, s14
	v_add_u32_e32 v4, s2, v0
	v_mov_b32_e32 v5, 0
	v_lshl_add_u64 v[4:5], v[4:5], 2, s[4:5]
	global_load_dword v3, v[4:5], off
	s_waitcnt vmcnt(0)
	v_alignbit_b32 v2, v3, v2, 30
	v_and_b32_e32 v6, 7, v2
.LBB13_50:
	s_load_dword s2, s[0:1], 0x8
	s_waitcnt lgkmcnt(0)
	s_ashr_i32 s8, s2, 31
	s_lshr_b32 s8, s8, 27
	s_add_i32 s8, s2, s8
	s_ashr_i32 s12, s8, 5
	s_andn2_b32 s8, s8, 31
	s_sub_i32 s15, s2, s8
	s_cmp_lt_i32 s15, 21
	s_mul_i32 s12, s12, 3
	s_cbranch_scc1 .LBB13_54
; %bb.51:
	s_cmp_eq_u32 s15, 21
	s_cbranch_scc0 .LBB13_55
; %bb.52:
	s_add_i32 s2, s12, 1
	s_mov_b64 s[8:9], 0
	s_branch .LBB13_56
.LBB13_53:
	v_mov_b32_e32 v3, 0
	s_waitcnt vmcnt(0)
	v_lshrrev_b64 v[4:5], s16, v[2:3]
	v_and_b32_e32 v6, 7, v4
	s_cbranch_execz .LBB13_49
	s_branch .LBB13_50
.LBB13_54:
	s_mov_b64 s[8:9], 0
                                        ; implicit-def: $sgpr2
	s_cbranch_execnz .LBB13_57
	s_branch .LBB13_58
.LBB13_55:
	s_mov_b64 s[8:9], -1
                                        ; implicit-def: $sgpr2
.LBB13_56:
	s_branch .LBB13_58
.LBB13_57:
	s_cmp_lg_u32 s15, 10
	s_cselect_b64 s[8:9], -1, 0
	s_mov_b32 s2, s12
.LBB13_58:
	s_andn2_b64 vcc, exec, s[8:9]
	s_mov_b32 s16, 3
	s_cbranch_vccnz .LBB13_65
; %bb.59:
	s_cmp_gt_i32 s15, 21
	s_mul_i32 s10, s15, 3
	s_cbranch_scc1 .LBB13_63
; %bb.60:
	s_cmp_lt_i32 s15, 11
	s_mov_b32 s16, s10
	s_mov_b32 s2, s12
	s_cbranch_scc1 .LBB13_62
; %bb.61:
	s_sub_i32 s16, s10, 32
	s_add_i32 s2, s12, 1
.LBB13_62:
	s_cbranch_execz .LBB13_64
	s_branch .LBB13_65
.LBB13_63:
                                        ; implicit-def: $sgpr16
                                        ; implicit-def: $sgpr2
.LBB13_64:
	s_sub_i32 s16, s10, 64
	s_add_i32 s2, s12, 2
.LBB13_65:
	s_mul_i32 s8, s2, s14
	s_waitcnt vmcnt(0)
	v_add_u32_e32 v2, s8, v0
	v_mov_b32_e32 v3, 0
	v_lshl_add_u64 v[2:3], v[2:3], 2, s[4:5]
	global_load_dword v2, v[2:3], off
	s_cmp_lt_i32 s15, 21
	s_mov_b64 s[8:9], 0
	s_cbranch_scc1 .LBB13_68
; %bb.66:
	s_cmp_eq_u32 s15, 21
	s_cbranch_scc0 .LBB13_69
; %bb.67:
	s_add_i32 s10, s2, 1
	s_mul_i32 s10, s10, s14
	v_add_u32_e32 v4, s10, v0
	v_mov_b32_e32 v5, 0
	v_lshl_add_u64 v[4:5], v[4:5], 2, s[4:5]
	global_load_dword v3, v[4:5], off
	s_mov_b64 s[10:11], 0
	s_waitcnt vmcnt(0)
	v_alignbit_b32 v3, v3, v2, 31
	v_and_b32_e32 v7, 7, v3
	s_branch .LBB13_70
.LBB13_68:
                                        ; implicit-def: $vgpr7
	s_mov_b64 s[10:11], 0
	s_cbranch_execnz .LBB13_71
	s_branch .LBB13_72
.LBB13_69:
	s_mov_b64 s[10:11], -1
                                        ; implicit-def: $vgpr7
.LBB13_70:
	s_branch .LBB13_72
.LBB13_71:
	s_cmp_lg_u32 s15, 10
	s_mov_b64 s[8:9], -1
	s_cselect_b64 s[10:11], -1, 0
.LBB13_72:
	s_andn2_b64 vcc, exec, s[10:11]
	s_cbranch_vccz .LBB13_78
; %bb.73:
	s_andn2_b64 vcc, exec, s[8:9]
	s_cbranch_vccnz .LBB13_75
.LBB13_74:
	s_add_i32 s2, s2, 1
	s_mul_i32 s2, s2, s14
	v_add_u32_e32 v4, s2, v0
	v_mov_b32_e32 v5, 0
	v_lshl_add_u64 v[4:5], v[4:5], 2, s[4:5]
	global_load_dword v3, v[4:5], off
	s_waitcnt vmcnt(0)
	v_alignbit_b32 v2, v3, v2, 30
	v_and_b32_e32 v7, 7, v2
.LBB13_75:
	s_load_dword s2, s[0:1], 0xc
	s_waitcnt lgkmcnt(0)
	s_ashr_i32 s8, s2, 31
	s_lshr_b32 s8, s8, 27
	s_add_i32 s8, s2, s8
	s_ashr_i32 s12, s8, 5
	s_andn2_b32 s8, s8, 31
	s_sub_i32 s15, s2, s8
	s_cmp_lt_i32 s15, 21
	s_mul_i32 s12, s12, 3
	s_cbranch_scc1 .LBB13_79
; %bb.76:
	s_cmp_eq_u32 s15, 21
	s_cbranch_scc0 .LBB13_80
; %bb.77:
	s_add_i32 s2, s12, 1
	s_mov_b64 s[8:9], 0
	s_branch .LBB13_81
.LBB13_78:
	v_mov_b32_e32 v3, 0
	s_waitcnt vmcnt(0)
	v_lshrrev_b64 v[4:5], s16, v[2:3]
	v_and_b32_e32 v7, 7, v4
	s_cbranch_execz .LBB13_74
	s_branch .LBB13_75
.LBB13_79:
	s_mov_b64 s[8:9], 0
                                        ; implicit-def: $sgpr2
	s_cbranch_execnz .LBB13_82
	s_branch .LBB13_83
.LBB13_80:
	s_mov_b64 s[8:9], -1
                                        ; implicit-def: $sgpr2
.LBB13_81:
	s_branch .LBB13_83
.LBB13_82:
	s_cmp_lg_u32 s15, 10
	s_cselect_b64 s[8:9], -1, 0
	s_mov_b32 s2, s12
.LBB13_83:
	s_andn2_b64 vcc, exec, s[8:9]
	s_mov_b32 s16, 6
	s_cbranch_vccnz .LBB13_90
; %bb.84:
	s_cmp_gt_i32 s15, 21
	s_mul_i32 s10, s15, 3
	s_cbranch_scc1 .LBB13_88
; %bb.85:
	s_cmp_lt_i32 s15, 11
	s_mov_b32 s16, s10
	s_mov_b32 s2, s12
	s_cbranch_scc1 .LBB13_87
; %bb.86:
	s_sub_i32 s16, s10, 32
	s_add_i32 s2, s12, 1
.LBB13_87:
	s_cbranch_execz .LBB13_89
	s_branch .LBB13_90
.LBB13_88:
                                        ; implicit-def: $sgpr16
                                        ; implicit-def: $sgpr2
.LBB13_89:
	s_sub_i32 s16, s10, 64
	s_add_i32 s2, s12, 2
.LBB13_90:
	s_mul_i32 s8, s2, s14
	s_waitcnt vmcnt(0)
	v_add_u32_e32 v2, s8, v0
	v_mov_b32_e32 v3, 0
	v_lshl_add_u64 v[2:3], v[2:3], 2, s[4:5]
	global_load_dword v2, v[2:3], off
	s_cmp_lt_i32 s15, 21
	s_mov_b64 s[8:9], 0
	s_cbranch_scc1 .LBB13_93
; %bb.91:
	s_cmp_eq_u32 s15, 21
	s_cbranch_scc0 .LBB13_94
; %bb.92:
	s_add_i32 s10, s2, 1
	s_mul_i32 s10, s10, s14
	v_add_u32_e32 v4, s10, v0
	v_mov_b32_e32 v5, 0
	v_lshl_add_u64 v[4:5], v[4:5], 2, s[4:5]
	global_load_dword v3, v[4:5], off
	s_mov_b64 s[10:11], 0
	s_waitcnt vmcnt(0)
	v_alignbit_b32 v3, v3, v2, 31
	v_and_b32_e32 v8, 7, v3
	s_branch .LBB13_95
.LBB13_93:
                                        ; implicit-def: $vgpr8
	s_mov_b64 s[10:11], 0
	s_cbranch_execnz .LBB13_96
	s_branch .LBB13_97
.LBB13_94:
	s_mov_b64 s[10:11], -1
                                        ; implicit-def: $vgpr8
.LBB13_95:
	s_branch .LBB13_97
.LBB13_96:
	s_cmp_lg_u32 s15, 10
	s_mov_b64 s[8:9], -1
	s_cselect_b64 s[10:11], -1, 0
.LBB13_97:
	s_andn2_b64 vcc, exec, s[10:11]
	s_cbranch_vccz .LBB13_103
; %bb.98:
	s_andn2_b64 vcc, exec, s[8:9]
	s_cbranch_vccnz .LBB13_100
.LBB13_99:
	s_add_i32 s2, s2, 1
	s_mul_i32 s2, s2, s14
	v_add_u32_e32 v4, s2, v0
	v_mov_b32_e32 v5, 0
	v_lshl_add_u64 v[4:5], v[4:5], 2, s[4:5]
	global_load_dword v3, v[4:5], off
	s_waitcnt vmcnt(0)
	v_alignbit_b32 v2, v3, v2, 30
	v_and_b32_e32 v8, 7, v2
.LBB13_100:
	s_load_dword s2, s[0:1], 0x10
	s_waitcnt lgkmcnt(0)
	s_ashr_i32 s8, s2, 31
	s_lshr_b32 s8, s8, 27
	s_add_i32 s8, s2, s8
	s_ashr_i32 s12, s8, 5
	s_andn2_b32 s8, s8, 31
	s_sub_i32 s15, s2, s8
	s_cmp_lt_i32 s15, 21
	s_mul_i32 s12, s12, 3
	s_cbranch_scc1 .LBB13_104
; %bb.101:
	s_cmp_eq_u32 s15, 21
	s_cbranch_scc0 .LBB13_105
; %bb.102:
	s_add_i32 s2, s12, 1
	s_mov_b64 s[8:9], 0
	s_branch .LBB13_106
.LBB13_103:
	v_mov_b32_e32 v3, 0
	s_waitcnt vmcnt(0)
	v_lshrrev_b64 v[4:5], s16, v[2:3]
	v_and_b32_e32 v8, 7, v4
	s_cbranch_execz .LBB13_99
	s_branch .LBB13_100
.LBB13_104:
	s_mov_b64 s[8:9], 0
                                        ; implicit-def: $sgpr2
	s_cbranch_execnz .LBB13_107
	s_branch .LBB13_108
.LBB13_105:
	s_mov_b64 s[8:9], -1
                                        ; implicit-def: $sgpr2
.LBB13_106:
	s_branch .LBB13_108
.LBB13_107:
	s_cmp_lg_u32 s15, 10
	s_cselect_b64 s[8:9], -1, 0
	s_mov_b32 s2, s12
.LBB13_108:
	s_andn2_b64 vcc, exec, s[8:9]
	s_mov_b32 s16, 9
	s_cbranch_vccnz .LBB13_115
; %bb.109:
	s_cmp_gt_i32 s15, 21
	s_mul_i32 s10, s15, 3
	s_cbranch_scc1 .LBB13_113
; %bb.110:
	s_cmp_lt_i32 s15, 11
	s_mov_b32 s16, s10
	s_mov_b32 s2, s12
	s_cbranch_scc1 .LBB13_112
; %bb.111:
	s_sub_i32 s16, s10, 32
	s_add_i32 s2, s12, 1
.LBB13_112:
	s_cbranch_execz .LBB13_114
	s_branch .LBB13_115
.LBB13_113:
                                        ; implicit-def: $sgpr16
                                        ; implicit-def: $sgpr2
.LBB13_114:
	s_sub_i32 s16, s10, 64
	s_add_i32 s2, s12, 2
.LBB13_115:
	s_mul_i32 s8, s2, s14
	s_waitcnt vmcnt(0)
	v_add_u32_e32 v2, s8, v0
	v_mov_b32_e32 v3, 0
	v_lshl_add_u64 v[2:3], v[2:3], 2, s[4:5]
	global_load_dword v2, v[2:3], off
	s_cmp_lt_i32 s15, 21
	s_mov_b64 s[8:9], 0
	s_cbranch_scc1 .LBB13_118
; %bb.116:
	s_cmp_eq_u32 s15, 21
	s_cbranch_scc0 .LBB13_119
; %bb.117:
	s_add_i32 s10, s2, 1
	s_mul_i32 s10, s10, s14
	v_add_u32_e32 v4, s10, v0
	v_mov_b32_e32 v5, 0
	v_lshl_add_u64 v[4:5], v[4:5], 2, s[4:5]
	global_load_dword v3, v[4:5], off
	s_mov_b64 s[10:11], 0
	s_waitcnt vmcnt(0)
	v_alignbit_b32 v3, v3, v2, 31
	v_and_b32_e32 v9, 7, v3
	s_branch .LBB13_120
.LBB13_118:
                                        ; implicit-def: $vgpr9
	s_mov_b64 s[10:11], 0
	s_cbranch_execnz .LBB13_121
	s_branch .LBB13_122
.LBB13_119:
	s_mov_b64 s[10:11], -1
                                        ; implicit-def: $vgpr9
.LBB13_120:
	s_branch .LBB13_122
.LBB13_121:
	s_cmp_lg_u32 s15, 10
	s_mov_b64 s[8:9], -1
	s_cselect_b64 s[10:11], -1, 0
.LBB13_122:
	s_andn2_b64 vcc, exec, s[10:11]
	s_cbranch_vccz .LBB13_128
; %bb.123:
	s_andn2_b64 vcc, exec, s[8:9]
	s_cbranch_vccnz .LBB13_125
.LBB13_124:
	s_add_i32 s2, s2, 1
	s_mul_i32 s2, s2, s14
	v_add_u32_e32 v4, s2, v0
	v_mov_b32_e32 v5, 0
	v_lshl_add_u64 v[4:5], v[4:5], 2, s[4:5]
	global_load_dword v3, v[4:5], off
	s_waitcnt vmcnt(0)
	v_alignbit_b32 v2, v3, v2, 30
	v_and_b32_e32 v9, 7, v2
.LBB13_125:
	s_load_dword s2, s[0:1], 0x14
	s_waitcnt lgkmcnt(0)
	s_ashr_i32 s8, s2, 31
	s_lshr_b32 s8, s8, 27
	s_add_i32 s8, s2, s8
	s_ashr_i32 s12, s8, 5
	s_andn2_b32 s8, s8, 31
	s_sub_i32 s15, s2, s8
	s_cmp_lt_i32 s15, 21
	s_mul_i32 s12, s12, 3
	s_cbranch_scc1 .LBB13_129
; %bb.126:
	s_cmp_eq_u32 s15, 21
	s_cbranch_scc0 .LBB13_130
; %bb.127:
	s_add_i32 s2, s12, 1
	s_mov_b64 s[8:9], 0
	s_branch .LBB13_131
.LBB13_128:
	v_mov_b32_e32 v3, 0
	s_waitcnt vmcnt(0)
	v_lshrrev_b64 v[4:5], s16, v[2:3]
	v_and_b32_e32 v9, 7, v4
	s_cbranch_execz .LBB13_124
	s_branch .LBB13_125
.LBB13_129:
	s_mov_b64 s[8:9], 0
                                        ; implicit-def: $sgpr2
	s_cbranch_execnz .LBB13_132
	s_branch .LBB13_133
.LBB13_130:
	s_mov_b64 s[8:9], -1
                                        ; implicit-def: $sgpr2
.LBB13_131:
	s_branch .LBB13_133
.LBB13_132:
	s_cmp_lg_u32 s15, 10
	s_cselect_b64 s[8:9], -1, 0
	s_mov_b32 s2, s12
.LBB13_133:
	s_andn2_b64 vcc, exec, s[8:9]
	s_mov_b32 s16, 12
	s_cbranch_vccnz .LBB13_140
; %bb.134:
	s_cmp_gt_i32 s15, 21
	s_mul_i32 s10, s15, 3
	s_cbranch_scc1 .LBB13_138
; %bb.135:
	s_cmp_lt_i32 s15, 11
	s_mov_b32 s16, s10
	s_mov_b32 s2, s12
	s_cbranch_scc1 .LBB13_137
; %bb.136:
	s_sub_i32 s16, s10, 32
	s_add_i32 s2, s12, 1
.LBB13_137:
	s_cbranch_execz .LBB13_139
	s_branch .LBB13_140
.LBB13_138:
                                        ; implicit-def: $sgpr16
                                        ; implicit-def: $sgpr2
.LBB13_139:
	s_sub_i32 s16, s10, 64
	s_add_i32 s2, s12, 2
.LBB13_140:
	s_mul_i32 s8, s2, s14
	s_waitcnt vmcnt(0)
	v_add_u32_e32 v2, s8, v0
	v_mov_b32_e32 v3, 0
	v_lshl_add_u64 v[2:3], v[2:3], 2, s[4:5]
	global_load_dword v2, v[2:3], off
	s_cmp_lt_i32 s15, 21
	s_mov_b64 s[8:9], 0
	s_cbranch_scc1 .LBB13_143
; %bb.141:
	s_cmp_eq_u32 s15, 21
	s_cbranch_scc0 .LBB13_144
; %bb.142:
	s_add_i32 s10, s2, 1
	s_mul_i32 s10, s10, s14
	v_add_u32_e32 v4, s10, v0
	v_mov_b32_e32 v5, 0
	v_lshl_add_u64 v[4:5], v[4:5], 2, s[4:5]
	global_load_dword v3, v[4:5], off
	s_mov_b64 s[10:11], 0
	s_waitcnt vmcnt(0)
	v_alignbit_b32 v3, v3, v2, 31
	v_and_b32_e32 v10, 7, v3
	s_branch .LBB13_145
.LBB13_143:
                                        ; implicit-def: $vgpr10
	s_mov_b64 s[10:11], 0
	s_cbranch_execnz .LBB13_146
	s_branch .LBB13_147
.LBB13_144:
	s_mov_b64 s[10:11], -1
                                        ; implicit-def: $vgpr10
.LBB13_145:
	s_branch .LBB13_147
.LBB13_146:
	s_cmp_lg_u32 s15, 10
	s_mov_b64 s[8:9], -1
	s_cselect_b64 s[10:11], -1, 0
.LBB13_147:
	s_andn2_b64 vcc, exec, s[10:11]
	s_cbranch_vccz .LBB13_153
; %bb.148:
	s_andn2_b64 vcc, exec, s[8:9]
	s_cbranch_vccnz .LBB13_150
.LBB13_149:
	s_add_i32 s2, s2, 1
	s_mul_i32 s2, s2, s14
	v_add_u32_e32 v4, s2, v0
	v_mov_b32_e32 v5, 0
	v_lshl_add_u64 v[4:5], v[4:5], 2, s[4:5]
	global_load_dword v3, v[4:5], off
	s_waitcnt vmcnt(0)
	v_alignbit_b32 v2, v3, v2, 30
	v_and_b32_e32 v10, 7, v2
.LBB13_150:
	s_load_dword s2, s[0:1], 0x18
	s_waitcnt lgkmcnt(0)
	s_ashr_i32 s8, s2, 31
	s_lshr_b32 s8, s8, 27
	s_add_i32 s8, s2, s8
	s_ashr_i32 s12, s8, 5
	s_andn2_b32 s8, s8, 31
	s_sub_i32 s15, s2, s8
	s_cmp_lt_i32 s15, 21
	s_mul_i32 s12, s12, 3
	s_cbranch_scc1 .LBB13_154
; %bb.151:
	s_cmp_eq_u32 s15, 21
	s_cbranch_scc0 .LBB13_155
; %bb.152:
	s_add_i32 s2, s12, 1
	s_mov_b64 s[8:9], 0
	s_branch .LBB13_156
.LBB13_153:
	v_mov_b32_e32 v3, 0
	s_waitcnt vmcnt(0)
	v_lshrrev_b64 v[4:5], s16, v[2:3]
	v_and_b32_e32 v10, 7, v4
	s_cbranch_execz .LBB13_149
	s_branch .LBB13_150
.LBB13_154:
	s_mov_b64 s[8:9], 0
                                        ; implicit-def: $sgpr2
	s_cbranch_execnz .LBB13_157
	s_branch .LBB13_158
.LBB13_155:
	s_mov_b64 s[8:9], -1
                                        ; implicit-def: $sgpr2
.LBB13_156:
	s_branch .LBB13_158
.LBB13_157:
	s_cmp_lg_u32 s15, 10
	s_cselect_b64 s[8:9], -1, 0
	s_mov_b32 s2, s12
.LBB13_158:
	s_andn2_b64 vcc, exec, s[8:9]
	s_mov_b32 s16, 15
	s_cbranch_vccnz .LBB13_165
; %bb.159:
	s_cmp_gt_i32 s15, 21
	s_mul_i32 s10, s15, 3
	s_cbranch_scc1 .LBB13_163
; %bb.160:
	s_cmp_lt_i32 s15, 11
	s_mov_b32 s16, s10
	s_mov_b32 s2, s12
	s_cbranch_scc1 .LBB13_162
; %bb.161:
	s_sub_i32 s16, s10, 32
	s_add_i32 s2, s12, 1
.LBB13_162:
	s_cbranch_execz .LBB13_164
	s_branch .LBB13_165
.LBB13_163:
                                        ; implicit-def: $sgpr16
                                        ; implicit-def: $sgpr2
.LBB13_164:
	s_sub_i32 s16, s10, 64
	s_add_i32 s2, s12, 2
.LBB13_165:
	s_mul_i32 s8, s2, s14
	s_waitcnt vmcnt(0)
	v_add_u32_e32 v2, s8, v0
	v_mov_b32_e32 v3, 0
	v_lshl_add_u64 v[2:3], v[2:3], 2, s[4:5]
	global_load_dword v2, v[2:3], off
	s_cmp_lt_i32 s15, 21
	s_mov_b64 s[8:9], 0
	s_cbranch_scc1 .LBB13_168
; %bb.166:
	s_cmp_eq_u32 s15, 21
	s_cbranch_scc0 .LBB13_169
; %bb.167:
	s_add_i32 s10, s2, 1
	s_mul_i32 s10, s10, s14
	v_add_u32_e32 v4, s10, v0
	v_mov_b32_e32 v5, 0
	v_lshl_add_u64 v[4:5], v[4:5], 2, s[4:5]
	global_load_dword v3, v[4:5], off
	s_mov_b64 s[10:11], 0
	s_waitcnt vmcnt(0)
	v_alignbit_b32 v3, v3, v2, 31
	v_and_b32_e32 v11, 7, v3
	s_branch .LBB13_170
.LBB13_168:
                                        ; implicit-def: $vgpr11
	s_mov_b64 s[10:11], 0
	s_cbranch_execnz .LBB13_171
	s_branch .LBB13_172
.LBB13_169:
	s_mov_b64 s[10:11], -1
                                        ; implicit-def: $vgpr11
.LBB13_170:
	s_branch .LBB13_172
.LBB13_171:
	s_cmp_lg_u32 s15, 10
	s_mov_b64 s[8:9], -1
	s_cselect_b64 s[10:11], -1, 0
.LBB13_172:
	s_andn2_b64 vcc, exec, s[10:11]
	s_cbranch_vccz .LBB13_178
; %bb.173:
	s_andn2_b64 vcc, exec, s[8:9]
	s_cbranch_vccnz .LBB13_175
.LBB13_174:
	s_add_i32 s2, s2, 1
	s_mul_i32 s2, s2, s14
	v_add_u32_e32 v4, s2, v0
	v_mov_b32_e32 v5, 0
	v_lshl_add_u64 v[4:5], v[4:5], 2, s[4:5]
	global_load_dword v3, v[4:5], off
	s_waitcnt vmcnt(0)
	v_alignbit_b32 v2, v3, v2, 30
	v_and_b32_e32 v11, 7, v2
.LBB13_175:
	s_load_dword s2, s[0:1], 0x1c
	s_waitcnt lgkmcnt(0)
	s_ashr_i32 s8, s2, 31
	s_lshr_b32 s8, s8, 27
	s_add_i32 s8, s2, s8
	s_ashr_i32 s12, s8, 5
	s_andn2_b32 s8, s8, 31
	s_sub_i32 s15, s2, s8
	s_cmp_lt_i32 s15, 21
	s_mul_i32 s12, s12, 3
	s_cbranch_scc1 .LBB13_179
; %bb.176:
	s_cmp_eq_u32 s15, 21
	s_cbranch_scc0 .LBB13_180
; %bb.177:
	s_add_i32 s2, s12, 1
	s_mov_b64 s[8:9], 0
	s_branch .LBB13_181
.LBB13_178:
	v_mov_b32_e32 v3, 0
	s_waitcnt vmcnt(0)
	v_lshrrev_b64 v[4:5], s16, v[2:3]
	v_and_b32_e32 v11, 7, v4
	s_cbranch_execz .LBB13_174
	s_branch .LBB13_175
.LBB13_179:
	s_mov_b64 s[8:9], 0
                                        ; implicit-def: $sgpr2
	s_cbranch_execnz .LBB13_182
	s_branch .LBB13_183
.LBB13_180:
	s_mov_b64 s[8:9], -1
                                        ; implicit-def: $sgpr2
.LBB13_181:
	s_branch .LBB13_183
.LBB13_182:
	s_cmp_lg_u32 s15, 10
	s_cselect_b64 s[8:9], -1, 0
	s_mov_b32 s2, s12
.LBB13_183:
	s_andn2_b64 vcc, exec, s[8:9]
	s_mov_b32 s16, 18
	s_cbranch_vccnz .LBB13_190
; %bb.184:
	s_cmp_gt_i32 s15, 21
	s_mul_i32 s10, s15, 3
	s_cbranch_scc1 .LBB13_188
; %bb.185:
	s_cmp_lt_i32 s15, 11
	s_mov_b32 s16, s10
	s_mov_b32 s2, s12
	s_cbranch_scc1 .LBB13_187
; %bb.186:
	s_sub_i32 s16, s10, 32
	s_add_i32 s2, s12, 1
.LBB13_187:
	s_cbranch_execz .LBB13_189
	s_branch .LBB13_190
.LBB13_188:
                                        ; implicit-def: $sgpr16
                                        ; implicit-def: $sgpr2
.LBB13_189:
	s_sub_i32 s16, s10, 64
	s_add_i32 s2, s12, 2
.LBB13_190:
	s_mul_i32 s8, s2, s14
	s_waitcnt vmcnt(0)
	v_add_u32_e32 v2, s8, v0
	v_mov_b32_e32 v3, 0
	v_lshl_add_u64 v[2:3], v[2:3], 2, s[4:5]
	global_load_dword v2, v[2:3], off
	s_cmp_lt_i32 s15, 21
	s_mov_b64 s[8:9], 0
	s_cbranch_scc1 .LBB13_193
; %bb.191:
	s_cmp_eq_u32 s15, 21
	s_cbranch_scc0 .LBB13_194
; %bb.192:
	s_add_i32 s10, s2, 1
	s_mul_i32 s10, s10, s14
	v_add_u32_e32 v4, s10, v0
	v_mov_b32_e32 v5, 0
	v_lshl_add_u64 v[4:5], v[4:5], 2, s[4:5]
	global_load_dword v3, v[4:5], off
	s_mov_b64 s[10:11], 0
	s_waitcnt vmcnt(0)
	v_alignbit_b32 v3, v3, v2, 31
	v_and_b32_e32 v12, 7, v3
	s_branch .LBB13_195
.LBB13_193:
                                        ; implicit-def: $vgpr12
	s_mov_b64 s[10:11], 0
	s_cbranch_execnz .LBB13_196
	s_branch .LBB13_197
.LBB13_194:
	s_mov_b64 s[10:11], -1
                                        ; implicit-def: $vgpr12
.LBB13_195:
	s_branch .LBB13_197
.LBB13_196:
	s_cmp_lg_u32 s15, 10
	s_mov_b64 s[8:9], -1
	s_cselect_b64 s[10:11], -1, 0
.LBB13_197:
	s_andn2_b64 vcc, exec, s[10:11]
	s_cbranch_vccz .LBB13_203
; %bb.198:
	s_andn2_b64 vcc, exec, s[8:9]
	s_cbranch_vccnz .LBB13_200
.LBB13_199:
	s_add_i32 s2, s2, 1
	s_mul_i32 s2, s2, s14
	v_add_u32_e32 v4, s2, v0
	v_mov_b32_e32 v5, 0
	v_lshl_add_u64 v[4:5], v[4:5], 2, s[4:5]
	global_load_dword v3, v[4:5], off
	s_waitcnt vmcnt(0)
	v_alignbit_b32 v2, v3, v2, 30
	v_and_b32_e32 v12, 7, v2
.LBB13_200:
	s_load_dword s2, s[0:1], 0x20
	s_waitcnt lgkmcnt(0)
	s_ashr_i32 s8, s2, 31
	s_lshr_b32 s8, s8, 27
	s_add_i32 s8, s2, s8
	s_ashr_i32 s12, s8, 5
	s_andn2_b32 s8, s8, 31
	s_sub_i32 s15, s2, s8
	s_cmp_lt_i32 s15, 21
	s_mul_i32 s12, s12, 3
	s_cbranch_scc1 .LBB13_204
; %bb.201:
	s_cmp_eq_u32 s15, 21
	s_cbranch_scc0 .LBB13_205
; %bb.202:
	s_add_i32 s2, s12, 1
	s_mov_b64 s[8:9], 0
	s_branch .LBB13_206
.LBB13_203:
	v_mov_b32_e32 v3, 0
	s_waitcnt vmcnt(0)
	v_lshrrev_b64 v[4:5], s16, v[2:3]
	v_and_b32_e32 v12, 7, v4
	s_cbranch_execz .LBB13_199
	s_branch .LBB13_200
.LBB13_204:
	s_mov_b64 s[8:9], 0
                                        ; implicit-def: $sgpr2
	s_cbranch_execnz .LBB13_207
	s_branch .LBB13_208
.LBB13_205:
	s_mov_b64 s[8:9], -1
                                        ; implicit-def: $sgpr2
.LBB13_206:
	s_branch .LBB13_208
.LBB13_207:
	s_cmp_lg_u32 s15, 10
	s_cselect_b64 s[8:9], -1, 0
	s_mov_b32 s2, s12
.LBB13_208:
	s_andn2_b64 vcc, exec, s[8:9]
	s_mov_b32 s16, 21
	s_cbranch_vccnz .LBB13_215
; %bb.209:
	s_cmp_gt_i32 s15, 21
	s_mul_i32 s10, s15, 3
	s_cbranch_scc1 .LBB13_213
; %bb.210:
	s_cmp_lt_i32 s15, 11
	s_mov_b32 s16, s10
	s_mov_b32 s2, s12
	s_cbranch_scc1 .LBB13_212
; %bb.211:
	s_sub_i32 s16, s10, 32
	s_add_i32 s2, s12, 1
.LBB13_212:
	s_cbranch_execz .LBB13_214
	s_branch .LBB13_215
.LBB13_213:
                                        ; implicit-def: $sgpr16
                                        ; implicit-def: $sgpr2
.LBB13_214:
	s_sub_i32 s16, s10, 64
	s_add_i32 s2, s12, 2
.LBB13_215:
	s_mul_i32 s8, s2, s14
	s_waitcnt vmcnt(0)
	v_add_u32_e32 v2, s8, v0
	v_mov_b32_e32 v3, 0
	v_lshl_add_u64 v[2:3], v[2:3], 2, s[4:5]
	global_load_dword v2, v[2:3], off
	s_cmp_lt_i32 s15, 21
	s_mov_b64 s[8:9], 0
	s_cbranch_scc1 .LBB13_218
; %bb.216:
	s_cmp_eq_u32 s15, 21
	s_cbranch_scc0 .LBB13_219
; %bb.217:
	s_add_i32 s10, s2, 1
	s_mul_i32 s10, s10, s14
	v_add_u32_e32 v4, s10, v0
	v_mov_b32_e32 v5, 0
	v_lshl_add_u64 v[4:5], v[4:5], 2, s[4:5]
	global_load_dword v3, v[4:5], off
	s_mov_b64 s[10:11], 0
	s_waitcnt vmcnt(0)
	v_alignbit_b32 v3, v3, v2, 31
	v_and_b32_e32 v13, 7, v3
	s_branch .LBB13_220
.LBB13_218:
                                        ; implicit-def: $vgpr13
	s_mov_b64 s[10:11], 0
	s_cbranch_execnz .LBB13_221
	s_branch .LBB13_222
.LBB13_219:
	s_mov_b64 s[10:11], -1
                                        ; implicit-def: $vgpr13
.LBB13_220:
	s_branch .LBB13_222
.LBB13_221:
	s_cmp_lg_u32 s15, 10
	s_mov_b64 s[8:9], -1
	s_cselect_b64 s[10:11], -1, 0
.LBB13_222:
	s_andn2_b64 vcc, exec, s[10:11]
	s_cbranch_vccz .LBB13_228
; %bb.223:
	s_andn2_b64 vcc, exec, s[8:9]
	s_cbranch_vccnz .LBB13_225
.LBB13_224:
	s_add_i32 s2, s2, 1
	s_mul_i32 s2, s2, s14
	v_add_u32_e32 v4, s2, v0
	v_mov_b32_e32 v5, 0
	v_lshl_add_u64 v[4:5], v[4:5], 2, s[4:5]
	global_load_dword v3, v[4:5], off
	s_waitcnt vmcnt(0)
	v_alignbit_b32 v2, v3, v2, 30
	v_and_b32_e32 v13, 7, v2
.LBB13_225:
	s_load_dword s2, s[0:1], 0x24
	s_waitcnt lgkmcnt(0)
	s_ashr_i32 s8, s2, 31
	s_lshr_b32 s8, s8, 27
	s_add_i32 s8, s2, s8
	s_ashr_i32 s12, s8, 5
	s_andn2_b32 s8, s8, 31
	s_sub_i32 s15, s2, s8
	s_cmp_lt_i32 s15, 21
	s_mul_i32 s12, s12, 3
	s_cbranch_scc1 .LBB13_229
; %bb.226:
	s_cmp_eq_u32 s15, 21
	s_cbranch_scc0 .LBB13_230
; %bb.227:
	s_add_i32 s2, s12, 1
	s_mov_b64 s[8:9], 0
	s_branch .LBB13_231
.LBB13_228:
	v_mov_b32_e32 v3, 0
	s_waitcnt vmcnt(0)
	v_lshrrev_b64 v[4:5], s16, v[2:3]
	v_and_b32_e32 v13, 7, v4
	s_cbranch_execz .LBB13_224
	s_branch .LBB13_225
.LBB13_229:
	s_mov_b64 s[8:9], 0
                                        ; implicit-def: $sgpr2
	s_cbranch_execnz .LBB13_232
	s_branch .LBB13_233
.LBB13_230:
	s_mov_b64 s[8:9], -1
                                        ; implicit-def: $sgpr2
.LBB13_231:
	s_branch .LBB13_233
.LBB13_232:
	s_cmp_lg_u32 s15, 10
	s_cselect_b64 s[8:9], -1, 0
	s_mov_b32 s2, s12
.LBB13_233:
	s_andn2_b64 vcc, exec, s[8:9]
	s_mov_b32 s16, 24
	s_cbranch_vccnz .LBB13_240
; %bb.234:
	s_cmp_gt_i32 s15, 21
	s_mul_i32 s10, s15, 3
	s_cbranch_scc1 .LBB13_238
; %bb.235:
	s_cmp_lt_i32 s15, 11
	s_mov_b32 s16, s10
	s_mov_b32 s2, s12
	s_cbranch_scc1 .LBB13_237
; %bb.236:
	s_sub_i32 s16, s10, 32
	s_add_i32 s2, s12, 1
.LBB13_237:
	s_cbranch_execz .LBB13_239
	s_branch .LBB13_240
.LBB13_238:
                                        ; implicit-def: $sgpr16
                                        ; implicit-def: $sgpr2
.LBB13_239:
	s_sub_i32 s16, s10, 64
	s_add_i32 s2, s12, 2
.LBB13_240:
	s_mul_i32 s8, s2, s14
	s_waitcnt vmcnt(0)
	v_add_u32_e32 v2, s8, v0
	v_mov_b32_e32 v3, 0
	v_lshl_add_u64 v[2:3], v[2:3], 2, s[4:5]
	global_load_dword v2, v[2:3], off
	s_cmp_lt_i32 s15, 21
	s_mov_b64 s[8:9], 0
	s_cbranch_scc1 .LBB13_243
; %bb.241:
	s_cmp_eq_u32 s15, 21
	s_cbranch_scc0 .LBB13_244
; %bb.242:
	s_add_i32 s10, s2, 1
	s_mul_i32 s10, s10, s14
	v_add_u32_e32 v4, s10, v0
	v_mov_b32_e32 v5, 0
	v_lshl_add_u64 v[4:5], v[4:5], 2, s[4:5]
	global_load_dword v3, v[4:5], off
	s_mov_b64 s[10:11], 0
	s_waitcnt vmcnt(0)
	v_alignbit_b32 v3, v3, v2, 31
	v_and_b32_e32 v14, 7, v3
	s_branch .LBB13_245
.LBB13_243:
                                        ; implicit-def: $vgpr14
	s_mov_b64 s[10:11], 0
	s_cbranch_execnz .LBB13_246
	s_branch .LBB13_247
.LBB13_244:
	s_mov_b64 s[10:11], -1
                                        ; implicit-def: $vgpr14
.LBB13_245:
	s_branch .LBB13_247
.LBB13_246:
	s_cmp_lg_u32 s15, 10
	s_mov_b64 s[8:9], -1
	s_cselect_b64 s[10:11], -1, 0
.LBB13_247:
	s_andn2_b64 vcc, exec, s[10:11]
	s_cbranch_vccz .LBB13_253
; %bb.248:
	s_andn2_b64 vcc, exec, s[8:9]
	s_cbranch_vccnz .LBB13_250
.LBB13_249:
	s_add_i32 s2, s2, 1
	s_mul_i32 s2, s2, s14
	v_add_u32_e32 v4, s2, v0
	v_mov_b32_e32 v5, 0
	v_lshl_add_u64 v[4:5], v[4:5], 2, s[4:5]
	global_load_dword v3, v[4:5], off
	s_waitcnt vmcnt(0)
	v_alignbit_b32 v2, v3, v2, 30
	v_and_b32_e32 v14, 7, v2
.LBB13_250:
	s_load_dword s2, s[0:1], 0x28
	s_waitcnt lgkmcnt(0)
	s_ashr_i32 s8, s2, 31
	s_lshr_b32 s8, s8, 27
	s_add_i32 s8, s2, s8
	s_ashr_i32 s12, s8, 5
	s_andn2_b32 s8, s8, 31
	s_sub_i32 s16, s2, s8
	s_cmp_lt_i32 s16, 21
	s_mul_i32 s12, s12, 3
	s_cbranch_scc1 .LBB13_254
; %bb.251:
	s_cmp_eq_u32 s16, 21
	s_cbranch_scc0 .LBB13_255
; %bb.252:
	s_add_i32 s15, s12, 1
	s_mov_b64 s[8:9], 0
	s_branch .LBB13_256
.LBB13_253:
	v_mov_b32_e32 v3, 0
	s_waitcnt vmcnt(0)
	v_lshrrev_b64 v[4:5], s16, v[2:3]
	v_and_b32_e32 v14, 7, v4
	s_cbranch_execz .LBB13_249
	s_branch .LBB13_250
.LBB13_254:
	s_mov_b64 s[8:9], 0
                                        ; implicit-def: $sgpr15
	s_cbranch_execnz .LBB13_257
	s_branch .LBB13_258
.LBB13_255:
	s_mov_b64 s[8:9], -1
                                        ; implicit-def: $sgpr15
.LBB13_256:
	s_branch .LBB13_258
.LBB13_257:
	s_cmp_lg_u32 s16, 10
	s_cselect_b64 s[8:9], -1, 0
	s_mov_b32 s15, s12
.LBB13_258:
	s_andn2_b64 vcc, exec, s[8:9]
	s_mov_b32 s2, 27
	s_cbranch_vccnz .LBB13_265
; %bb.259:
	s_cmp_gt_i32 s16, 21
	s_mul_i32 s10, s16, 3
	s_cbranch_scc1 .LBB13_263
; %bb.260:
	s_cmp_lt_i32 s16, 11
	s_mov_b32 s2, s10
	s_mov_b32 s15, s12
	s_cbranch_scc1 .LBB13_262
; %bb.261:
	s_sub_i32 s2, s10, 32
	s_add_i32 s15, s12, 1
.LBB13_262:
	s_cbranch_execz .LBB13_264
	s_branch .LBB13_265
.LBB13_263:
                                        ; implicit-def: $sgpr2
                                        ; implicit-def: $sgpr15
.LBB13_264:
	s_sub_i32 s2, s10, 64
	s_add_i32 s15, s12, 2
.LBB13_265:
	s_mul_i32 s8, s15, s14
	s_waitcnt vmcnt(0)
	v_add_u32_e32 v2, s8, v0
	v_mov_b32_e32 v3, 0
	v_lshl_add_u64 v[2:3], v[2:3], 2, s[4:5]
	global_load_dword v2, v[2:3], off
	s_cmp_lt_i32 s16, 21
	s_mov_b64 s[8:9], 0
	s_cbranch_scc1 .LBB13_268
; %bb.266:
	s_cmp_eq_u32 s16, 21
	s_cbranch_scc0 .LBB13_269
; %bb.267:
	s_add_i32 s10, s15, 1
	s_mul_i32 s10, s10, s14
	v_add_u32_e32 v4, s10, v0
	v_mov_b32_e32 v5, 0
	v_lshl_add_u64 v[4:5], v[4:5], 2, s[4:5]
	global_load_dword v3, v[4:5], off
	s_mov_b64 s[10:11], 0
	s_waitcnt vmcnt(0)
	v_alignbit_b32 v3, v3, v2, 31
	v_and_b32_e32 v15, 7, v3
	s_branch .LBB13_270
.LBB13_268:
                                        ; implicit-def: $vgpr15
	s_mov_b64 s[10:11], 0
	s_cbranch_execnz .LBB13_271
	s_branch .LBB13_272
.LBB13_269:
	s_mov_b64 s[10:11], -1
                                        ; implicit-def: $vgpr15
.LBB13_270:
	s_branch .LBB13_272
.LBB13_271:
	s_cmp_lg_u32 s16, 10
	s_mov_b64 s[8:9], -1
	s_cselect_b64 s[10:11], -1, 0
.LBB13_272:
	s_andn2_b64 vcc, exec, s[10:11]
	s_cbranch_vccz .LBB13_278
; %bb.273:
	s_andn2_b64 vcc, exec, s[8:9]
	s_cbranch_vccnz .LBB13_275
.LBB13_274:
	s_add_i32 s8, s15, 1
	s_mul_i32 s8, s8, s14
	v_add_u32_e32 v4, s8, v0
	v_mov_b32_e32 v5, 0
	v_lshl_add_u64 v[4:5], v[4:5], 2, s[4:5]
	global_load_dword v3, v[4:5], off
	s_waitcnt vmcnt(0)
	v_alignbit_b32 v2, v3, v2, 30
	v_and_b32_e32 v15, 7, v2
.LBB13_275:
	s_load_dword s8, s[0:1], 0x2c
	s_waitcnt lgkmcnt(0)
	s_ashr_i32 s9, s8, 31
	s_lshr_b32 s9, s9, 27
	s_add_i32 s9, s8, s9
	s_ashr_i32 s12, s9, 5
	s_andn2_b32 s9, s9, 31
	s_sub_i32 s16, s8, s9
	s_cmp_lt_i32 s16, 21
	s_mul_i32 s12, s12, 3
	s_cbranch_scc1 .LBB13_279
; %bb.276:
	s_cmp_eq_u32 s16, 21
	s_cbranch_scc0 .LBB13_280
; %bb.277:
	s_add_i32 s15, s12, 1
	s_mov_b64 s[8:9], 0
	s_branch .LBB13_281
.LBB13_278:
	v_mov_b32_e32 v3, 0
	s_waitcnt vmcnt(0)
	v_lshrrev_b64 v[4:5], s2, v[2:3]
	v_and_b32_e32 v15, 7, v4
	s_cbranch_execz .LBB13_274
	s_branch .LBB13_275
.LBB13_279:
	s_mov_b64 s[8:9], 0
                                        ; implicit-def: $sgpr15
	s_cbranch_execnz .LBB13_282
	s_branch .LBB13_283
.LBB13_280:
	s_mov_b64 s[8:9], -1
                                        ; implicit-def: $sgpr15
.LBB13_281:
	s_branch .LBB13_283
.LBB13_282:
	s_cmp_lg_u32 s16, 10
	s_cselect_b64 s[8:9], -1, 0
	s_mov_b32 s15, s12
.LBB13_283:
	s_andn2_b64 vcc, exec, s[8:9]
	s_cbranch_vccnz .LBB13_290
; %bb.284:
	s_cmp_gt_i32 s16, 21
	s_mul_i32 s10, s16, 3
	s_cbranch_scc1 .LBB13_288
; %bb.285:
	s_cmp_lt_i32 s16, 11
	s_mov_b32 s2, s10
	s_mov_b32 s15, s12
	s_cbranch_scc1 .LBB13_287
; %bb.286:
	s_sub_i32 s2, s10, 32
	s_add_i32 s15, s12, 1
.LBB13_287:
	s_cbranch_execz .LBB13_289
	s_branch .LBB13_290
.LBB13_288:
                                        ; implicit-def: $sgpr2
                                        ; implicit-def: $sgpr15
.LBB13_289:
	s_sub_i32 s2, s10, 64
	s_add_i32 s15, s12, 2
.LBB13_290:
	s_mul_i32 s8, s15, s14
	s_waitcnt vmcnt(0)
	v_add_u32_e32 v2, s8, v0
	v_mov_b32_e32 v3, 0
	v_lshl_add_u64 v[2:3], v[2:3], 2, s[4:5]
	global_load_dword v2, v[2:3], off
	s_cmp_lt_i32 s16, 21
	s_mov_b64 s[8:9], 0
	s_cbranch_scc1 .LBB13_293
; %bb.291:
	s_cmp_eq_u32 s16, 21
	s_cbranch_scc0 .LBB13_294
; %bb.292:
	s_add_i32 s10, s15, 1
	s_mul_i32 s10, s10, s14
	v_add_u32_e32 v4, s10, v0
	v_mov_b32_e32 v5, 0
	v_lshl_add_u64 v[4:5], v[4:5], 2, s[4:5]
	global_load_dword v3, v[4:5], off
	s_mov_b64 s[10:11], 0
	s_waitcnt vmcnt(0)
	v_alignbit_b32 v3, v3, v2, 31
	v_and_b32_e32 v16, 7, v3
	s_branch .LBB13_295
.LBB13_293:
                                        ; implicit-def: $vgpr16
	s_mov_b64 s[10:11], 0
	s_cbranch_execnz .LBB13_296
	s_branch .LBB13_297
.LBB13_294:
	s_mov_b64 s[10:11], -1
                                        ; implicit-def: $vgpr16
.LBB13_295:
	s_branch .LBB13_297
.LBB13_296:
	s_cmp_lg_u32 s16, 10
	s_mov_b64 s[8:9], -1
	s_cselect_b64 s[10:11], -1, 0
.LBB13_297:
	s_andn2_b64 vcc, exec, s[10:11]
	s_cbranch_vccz .LBB13_303
; %bb.298:
	s_andn2_b64 vcc, exec, s[8:9]
	s_cbranch_vccnz .LBB13_300
.LBB13_299:
	s_add_i32 s2, s15, 1
	s_mul_i32 s2, s2, s14
	v_add_u32_e32 v4, s2, v0
	v_mov_b32_e32 v5, 0
	v_lshl_add_u64 v[4:5], v[4:5], 2, s[4:5]
	global_load_dword v3, v[4:5], off
	s_waitcnt vmcnt(0)
	v_alignbit_b32 v2, v3, v2, 30
	v_and_b32_e32 v16, 7, v2
.LBB13_300:
	s_load_dword s2, s[0:1], 0x30
	s_waitcnt lgkmcnt(0)
	s_ashr_i32 s8, s2, 31
	s_lshr_b32 s8, s8, 27
	s_add_i32 s8, s2, s8
	s_ashr_i32 s12, s8, 5
	s_andn2_b32 s8, s8, 31
	s_sub_i32 s15, s2, s8
	s_cmp_lt_i32 s15, 21
	s_mul_i32 s12, s12, 3
	s_cbranch_scc1 .LBB13_304
; %bb.301:
	s_cmp_eq_u32 s15, 21
	s_cbranch_scc0 .LBB13_305
; %bb.302:
	s_add_i32 s2, s12, 1
	s_mov_b64 s[8:9], 0
	s_branch .LBB13_306
.LBB13_303:
	v_mov_b32_e32 v3, 0
	s_waitcnt vmcnt(0)
	v_lshrrev_b64 v[4:5], s2, v[2:3]
	v_and_b32_e32 v16, 7, v4
	s_cbranch_execz .LBB13_299
	s_branch .LBB13_300
.LBB13_304:
	s_mov_b64 s[8:9], 0
                                        ; implicit-def: $sgpr2
	s_cbranch_execnz .LBB13_307
	s_branch .LBB13_308
.LBB13_305:
	s_mov_b64 s[8:9], -1
                                        ; implicit-def: $sgpr2
.LBB13_306:
	s_branch .LBB13_308
.LBB13_307:
	s_cmp_lg_u32 s15, 10
	s_cselect_b64 s[8:9], -1, 0
	s_mov_b32 s2, s12
.LBB13_308:
	s_andn2_b64 vcc, exec, s[8:9]
	s_mov_b32 s16, 1
	s_cbranch_vccnz .LBB13_315
; %bb.309:
	s_cmp_gt_i32 s15, 21
	s_mul_i32 s10, s15, 3
	s_cbranch_scc1 .LBB13_313
; %bb.310:
	s_cmp_lt_i32 s15, 11
	s_mov_b32 s16, s10
	s_mov_b32 s2, s12
	s_cbranch_scc1 .LBB13_312
; %bb.311:
	s_sub_i32 s16, s10, 32
	s_add_i32 s2, s12, 1
.LBB13_312:
	s_cbranch_execz .LBB13_314
	s_branch .LBB13_315
.LBB13_313:
                                        ; implicit-def: $sgpr16
                                        ; implicit-def: $sgpr2
.LBB13_314:
	s_sub_i32 s16, s10, 64
	s_add_i32 s2, s12, 2
.LBB13_315:
	s_mul_i32 s8, s2, s14
	s_waitcnt vmcnt(0)
	v_add_u32_e32 v2, s8, v0
	v_mov_b32_e32 v3, 0
	v_lshl_add_u64 v[2:3], v[2:3], 2, s[4:5]
	global_load_dword v2, v[2:3], off
	s_cmp_lt_i32 s15, 21
	s_mov_b64 s[8:9], 0
	s_cbranch_scc1 .LBB13_318
; %bb.316:
	s_cmp_eq_u32 s15, 21
	s_cbranch_scc0 .LBB13_319
; %bb.317:
	s_add_i32 s10, s2, 1
	s_mul_i32 s10, s10, s14
	v_add_u32_e32 v4, s10, v0
	v_mov_b32_e32 v5, 0
	v_lshl_add_u64 v[4:5], v[4:5], 2, s[4:5]
	global_load_dword v3, v[4:5], off
	s_mov_b64 s[10:11], 0
	s_waitcnt vmcnt(0)
	v_alignbit_b32 v3, v3, v2, 31
	v_and_b32_e32 v17, 7, v3
	s_branch .LBB13_320
.LBB13_318:
                                        ; implicit-def: $vgpr17
	s_mov_b64 s[10:11], 0
	s_cbranch_execnz .LBB13_321
	s_branch .LBB13_322
.LBB13_319:
	s_mov_b64 s[10:11], -1
                                        ; implicit-def: $vgpr17
.LBB13_320:
	s_branch .LBB13_322
.LBB13_321:
	s_cmp_lg_u32 s15, 10
	s_mov_b64 s[8:9], -1
	s_cselect_b64 s[10:11], -1, 0
.LBB13_322:
	s_andn2_b64 vcc, exec, s[10:11]
	s_cbranch_vccz .LBB13_328
; %bb.323:
	s_andn2_b64 vcc, exec, s[8:9]
	s_cbranch_vccnz .LBB13_325
.LBB13_324:
	s_add_i32 s2, s2, 1
	s_mul_i32 s2, s2, s14
	v_add_u32_e32 v4, s2, v0
	v_mov_b32_e32 v5, 0
	v_lshl_add_u64 v[4:5], v[4:5], 2, s[4:5]
	global_load_dword v3, v[4:5], off
	s_waitcnt vmcnt(0)
	v_alignbit_b32 v2, v3, v2, 30
	v_and_b32_e32 v17, 7, v2
.LBB13_325:
	s_load_dword s2, s[0:1], 0x34
	s_waitcnt lgkmcnt(0)
	s_ashr_i32 s8, s2, 31
	s_lshr_b32 s8, s8, 27
	s_add_i32 s8, s2, s8
	s_ashr_i32 s12, s8, 5
	s_andn2_b32 s8, s8, 31
	s_sub_i32 s15, s2, s8
	s_cmp_lt_i32 s15, 21
	s_mul_i32 s12, s12, 3
	s_cbranch_scc1 .LBB13_329
; %bb.326:
	s_cmp_eq_u32 s15, 21
	s_cbranch_scc0 .LBB13_330
; %bb.327:
	s_add_i32 s2, s12, 1
	s_mov_b64 s[8:9], 0
	s_branch .LBB13_331
.LBB13_328:
	v_mov_b32_e32 v3, 0
	s_waitcnt vmcnt(0)
	v_lshrrev_b64 v[4:5], s16, v[2:3]
	v_and_b32_e32 v17, 7, v4
	s_cbranch_execz .LBB13_324
	s_branch .LBB13_325
.LBB13_329:
	s_mov_b64 s[8:9], 0
                                        ; implicit-def: $sgpr2
	s_cbranch_execnz .LBB13_332
	s_branch .LBB13_333
.LBB13_330:
	s_mov_b64 s[8:9], -1
                                        ; implicit-def: $sgpr2
.LBB13_331:
	s_branch .LBB13_333
.LBB13_332:
	s_cmp_lg_u32 s15, 10
	s_cselect_b64 s[8:9], -1, 0
	s_mov_b32 s2, s12
.LBB13_333:
	s_andn2_b64 vcc, exec, s[8:9]
	s_mov_b32 s16, 4
	s_cbranch_vccnz .LBB13_340
; %bb.334:
	s_cmp_gt_i32 s15, 21
	s_mul_i32 s10, s15, 3
	s_cbranch_scc1 .LBB13_338
; %bb.335:
	s_cmp_lt_i32 s15, 11
	s_mov_b32 s16, s10
	s_mov_b32 s2, s12
	s_cbranch_scc1 .LBB13_337
; %bb.336:
	s_sub_i32 s16, s10, 32
	s_add_i32 s2, s12, 1
.LBB13_337:
	s_cbranch_execz .LBB13_339
	s_branch .LBB13_340
.LBB13_338:
                                        ; implicit-def: $sgpr16
                                        ; implicit-def: $sgpr2
.LBB13_339:
	s_sub_i32 s16, s10, 64
	s_add_i32 s2, s12, 2
.LBB13_340:
	s_mul_i32 s8, s2, s14
	s_waitcnt vmcnt(0)
	v_add_u32_e32 v2, s8, v0
	v_mov_b32_e32 v3, 0
	v_lshl_add_u64 v[2:3], v[2:3], 2, s[4:5]
	global_load_dword v2, v[2:3], off
	s_cmp_lt_i32 s15, 21
	s_mov_b64 s[8:9], 0
	s_cbranch_scc1 .LBB13_343
; %bb.341:
	s_cmp_eq_u32 s15, 21
	s_cbranch_scc0 .LBB13_344
; %bb.342:
	s_add_i32 s10, s2, 1
	s_mul_i32 s10, s10, s14
	v_add_u32_e32 v4, s10, v0
	v_mov_b32_e32 v5, 0
	v_lshl_add_u64 v[4:5], v[4:5], 2, s[4:5]
	global_load_dword v3, v[4:5], off
	s_mov_b64 s[10:11], 0
	s_waitcnt vmcnt(0)
	v_alignbit_b32 v3, v3, v2, 31
	v_and_b32_e32 v18, 7, v3
	s_branch .LBB13_345
.LBB13_343:
                                        ; implicit-def: $vgpr18
	s_mov_b64 s[10:11], 0
	s_cbranch_execnz .LBB13_346
	s_branch .LBB13_347
.LBB13_344:
	s_mov_b64 s[10:11], -1
                                        ; implicit-def: $vgpr18
.LBB13_345:
	s_branch .LBB13_347
.LBB13_346:
	s_cmp_lg_u32 s15, 10
	s_mov_b64 s[8:9], -1
	s_cselect_b64 s[10:11], -1, 0
.LBB13_347:
	s_andn2_b64 vcc, exec, s[10:11]
	s_cbranch_vccz .LBB13_353
; %bb.348:
	s_andn2_b64 vcc, exec, s[8:9]
	s_cbranch_vccnz .LBB13_350
.LBB13_349:
	s_add_i32 s2, s2, 1
	s_mul_i32 s2, s2, s14
	v_add_u32_e32 v4, s2, v0
	v_mov_b32_e32 v5, 0
	v_lshl_add_u64 v[4:5], v[4:5], 2, s[4:5]
	global_load_dword v3, v[4:5], off
	s_waitcnt vmcnt(0)
	v_alignbit_b32 v2, v3, v2, 30
	v_and_b32_e32 v18, 7, v2
.LBB13_350:
	s_load_dword s2, s[0:1], 0x38
	s_waitcnt lgkmcnt(0)
	s_ashr_i32 s8, s2, 31
	s_lshr_b32 s8, s8, 27
	s_add_i32 s8, s2, s8
	s_ashr_i32 s12, s8, 5
	s_andn2_b32 s8, s8, 31
	s_sub_i32 s15, s2, s8
	s_cmp_lt_i32 s15, 21
	s_mul_i32 s12, s12, 3
	s_cbranch_scc1 .LBB13_354
; %bb.351:
	s_cmp_eq_u32 s15, 21
	s_cbranch_scc0 .LBB13_355
; %bb.352:
	s_add_i32 s2, s12, 1
	s_mov_b64 s[8:9], 0
	s_branch .LBB13_356
.LBB13_353:
	v_mov_b32_e32 v3, 0
	s_waitcnt vmcnt(0)
	v_lshrrev_b64 v[4:5], s16, v[2:3]
	v_and_b32_e32 v18, 7, v4
	s_cbranch_execz .LBB13_349
	s_branch .LBB13_350
.LBB13_354:
	s_mov_b64 s[8:9], 0
                                        ; implicit-def: $sgpr2
	s_cbranch_execnz .LBB13_357
	s_branch .LBB13_358
.LBB13_355:
	s_mov_b64 s[8:9], -1
                                        ; implicit-def: $sgpr2
.LBB13_356:
	s_branch .LBB13_358
.LBB13_357:
	s_cmp_lg_u32 s15, 10
	s_cselect_b64 s[8:9], -1, 0
	s_mov_b32 s2, s12
.LBB13_358:
	s_andn2_b64 vcc, exec, s[8:9]
	s_mov_b32 s16, 7
	s_cbranch_vccnz .LBB13_365
; %bb.359:
	s_cmp_gt_i32 s15, 21
	s_mul_i32 s10, s15, 3
	s_cbranch_scc1 .LBB13_363
; %bb.360:
	s_cmp_lt_i32 s15, 11
	s_mov_b32 s16, s10
	s_mov_b32 s2, s12
	s_cbranch_scc1 .LBB13_362
; %bb.361:
	s_sub_i32 s16, s10, 32
	s_add_i32 s2, s12, 1
.LBB13_362:
	s_cbranch_execz .LBB13_364
	s_branch .LBB13_365
.LBB13_363:
                                        ; implicit-def: $sgpr16
                                        ; implicit-def: $sgpr2
.LBB13_364:
	s_sub_i32 s16, s10, 64
	s_add_i32 s2, s12, 2
.LBB13_365:
	s_mul_i32 s8, s2, s14
	s_waitcnt vmcnt(0)
	v_add_u32_e32 v2, s8, v0
	v_mov_b32_e32 v3, 0
	v_lshl_add_u64 v[2:3], v[2:3], 2, s[4:5]
	global_load_dword v2, v[2:3], off
	s_cmp_lt_i32 s15, 21
	s_mov_b64 s[8:9], 0
	s_cbranch_scc1 .LBB13_368
; %bb.366:
	s_cmp_eq_u32 s15, 21
	s_cbranch_scc0 .LBB13_369
; %bb.367:
	s_add_i32 s10, s2, 1
	s_mul_i32 s10, s10, s14
	v_add_u32_e32 v4, s10, v0
	v_mov_b32_e32 v5, 0
	v_lshl_add_u64 v[4:5], v[4:5], 2, s[4:5]
	global_load_dword v3, v[4:5], off
	s_mov_b64 s[10:11], 0
	s_waitcnt vmcnt(0)
	v_alignbit_b32 v3, v3, v2, 31
	v_and_b32_e32 v19, 7, v3
	s_branch .LBB13_370
.LBB13_368:
                                        ; implicit-def: $vgpr19
	s_mov_b64 s[10:11], 0
	s_cbranch_execnz .LBB13_371
	s_branch .LBB13_372
.LBB13_369:
	s_mov_b64 s[10:11], -1
                                        ; implicit-def: $vgpr19
.LBB13_370:
	s_branch .LBB13_372
.LBB13_371:
	s_cmp_lg_u32 s15, 10
	s_mov_b64 s[8:9], -1
	s_cselect_b64 s[10:11], -1, 0
.LBB13_372:
	s_andn2_b64 vcc, exec, s[10:11]
	s_cbranch_vccz .LBB13_378
; %bb.373:
	s_andn2_b64 vcc, exec, s[8:9]
	s_cbranch_vccnz .LBB13_375
.LBB13_374:
	s_add_i32 s2, s2, 1
	s_mul_i32 s2, s2, s14
	v_add_u32_e32 v4, s2, v0
	v_mov_b32_e32 v5, 0
	v_lshl_add_u64 v[4:5], v[4:5], 2, s[4:5]
	global_load_dword v3, v[4:5], off
	s_waitcnt vmcnt(0)
	v_alignbit_b32 v2, v3, v2, 30
	v_and_b32_e32 v19, 7, v2
.LBB13_375:
	s_load_dword s2, s[0:1], 0x3c
	s_waitcnt lgkmcnt(0)
	s_ashr_i32 s8, s2, 31
	s_lshr_b32 s8, s8, 27
	s_add_i32 s8, s2, s8
	s_ashr_i32 s12, s8, 5
	s_andn2_b32 s8, s8, 31
	s_sub_i32 s15, s2, s8
	s_cmp_lt_i32 s15, 21
	s_mul_i32 s12, s12, 3
	s_cbranch_scc1 .LBB13_379
; %bb.376:
	s_cmp_eq_u32 s15, 21
	s_cbranch_scc0 .LBB13_380
; %bb.377:
	s_add_i32 s2, s12, 1
	s_mov_b64 s[8:9], 0
	s_branch .LBB13_381
.LBB13_378:
	v_mov_b32_e32 v3, 0
	s_waitcnt vmcnt(0)
	v_lshrrev_b64 v[4:5], s16, v[2:3]
	v_and_b32_e32 v19, 7, v4
	s_cbranch_execz .LBB13_374
	s_branch .LBB13_375
.LBB13_379:
	s_mov_b64 s[8:9], 0
                                        ; implicit-def: $sgpr2
	s_mov_b32 s16, 10
	s_cbranch_execnz .LBB13_382
	s_branch .LBB13_383
.LBB13_380:
	s_mov_b64 s[8:9], -1
                                        ; implicit-def: $sgpr2
.LBB13_381:
	s_mov_b32 s16, 10
	s_branch .LBB13_383
.LBB13_382:
	s_cmp_lg_u32 s15, 10
	s_cselect_b64 s[8:9], -1, 0
	s_mov_b32 s16, s15
	s_mov_b32 s2, s12
.LBB13_383:
	s_andn2_b64 vcc, exec, s[8:9]
	s_cbranch_vccnz .LBB13_390
; %bb.384:
	s_cmp_gt_i32 s15, 21
	s_mul_i32 s10, s15, 3
	s_cbranch_scc1 .LBB13_388
; %bb.385:
	s_cmp_lt_i32 s15, 11
	s_mov_b32 s16, s10
	s_mov_b32 s2, s12
	s_cbranch_scc1 .LBB13_387
; %bb.386:
	s_sub_i32 s16, s10, 32
	s_add_i32 s2, s12, 1
.LBB13_387:
	s_cbranch_execz .LBB13_389
	s_branch .LBB13_390
.LBB13_388:
                                        ; implicit-def: $sgpr16
                                        ; implicit-def: $sgpr2
.LBB13_389:
	s_sub_i32 s16, s10, 64
	s_add_i32 s2, s12, 2
.LBB13_390:
	s_mul_i32 s8, s2, s14
	s_waitcnt vmcnt(0)
	v_add_u32_e32 v2, s8, v0
	v_mov_b32_e32 v3, 0
	v_lshl_add_u64 v[2:3], v[2:3], 2, s[4:5]
	global_load_dword v2, v[2:3], off
	s_cmp_lt_i32 s15, 21
	s_mov_b64 s[8:9], 0
	s_cbranch_scc1 .LBB13_393
; %bb.391:
	s_cmp_eq_u32 s15, 21
	s_cbranch_scc0 .LBB13_394
; %bb.392:
	s_add_i32 s10, s2, 1
	s_mul_i32 s10, s10, s14
	v_add_u32_e32 v4, s10, v0
	v_mov_b32_e32 v5, 0
	v_lshl_add_u64 v[4:5], v[4:5], 2, s[4:5]
	global_load_dword v3, v[4:5], off
	s_mov_b64 s[10:11], 0
	s_waitcnt vmcnt(0)
	v_alignbit_b32 v3, v3, v2, 31
	v_and_b32_e32 v20, 7, v3
	s_branch .LBB13_395
.LBB13_393:
                                        ; implicit-def: $vgpr20
	s_mov_b64 s[10:11], 0
	s_cbranch_execnz .LBB13_396
	s_branch .LBB13_397
.LBB13_394:
	s_mov_b64 s[10:11], -1
                                        ; implicit-def: $vgpr20
.LBB13_395:
	s_branch .LBB13_397
.LBB13_396:
	s_cmp_lg_u32 s15, 10
	s_mov_b64 s[8:9], -1
	s_cselect_b64 s[10:11], -1, 0
.LBB13_397:
	s_andn2_b64 vcc, exec, s[10:11]
	s_cbranch_vccz .LBB13_403
; %bb.398:
	s_andn2_b64 vcc, exec, s[8:9]
	s_cbranch_vccnz .LBB13_400
.LBB13_399:
	s_add_i32 s2, s2, 1
	s_mul_i32 s2, s2, s14
	v_add_u32_e32 v4, s2, v0
	v_mov_b32_e32 v5, 0
	v_lshl_add_u64 v[4:5], v[4:5], 2, s[4:5]
	global_load_dword v3, v[4:5], off
	s_waitcnt vmcnt(0)
	v_alignbit_b32 v2, v3, v2, 30
	v_and_b32_e32 v20, 7, v2
.LBB13_400:
	s_load_dword s2, s[0:1], 0x40
	s_waitcnt lgkmcnt(0)
	s_ashr_i32 s8, s2, 31
	s_lshr_b32 s8, s8, 27
	s_add_i32 s8, s2, s8
	s_ashr_i32 s12, s8, 5
	s_andn2_b32 s8, s8, 31
	s_sub_i32 s15, s2, s8
	s_cmp_lt_i32 s15, 21
	s_mul_i32 s12, s12, 3
	s_cbranch_scc1 .LBB13_404
; %bb.401:
	s_cmp_eq_u32 s15, 21
	s_cbranch_scc0 .LBB13_405
; %bb.402:
	s_add_i32 s2, s12, 1
	s_mov_b64 s[8:9], 0
	s_branch .LBB13_406
.LBB13_403:
	v_mov_b32_e32 v3, 0
	s_waitcnt vmcnt(0)
	v_lshrrev_b64 v[4:5], s16, v[2:3]
	v_and_b32_e32 v20, 7, v4
	s_cbranch_execz .LBB13_399
	s_branch .LBB13_400
.LBB13_404:
	s_mov_b64 s[8:9], 0
                                        ; implicit-def: $sgpr2
	s_cbranch_execnz .LBB13_407
	s_branch .LBB13_408
.LBB13_405:
	s_mov_b64 s[8:9], -1
                                        ; implicit-def: $sgpr2
.LBB13_406:
	s_branch .LBB13_408
.LBB13_407:
	s_cmp_lg_u32 s15, 10
	s_cselect_b64 s[8:9], -1, 0
	s_mov_b32 s2, s12
.LBB13_408:
	s_andn2_b64 vcc, exec, s[8:9]
	s_mov_b32 s16, 13
	s_cbranch_vccnz .LBB13_415
; %bb.409:
	s_cmp_gt_i32 s15, 21
	s_mul_i32 s10, s15, 3
	s_cbranch_scc1 .LBB13_413
; %bb.410:
	s_cmp_lt_i32 s15, 11
	s_mov_b32 s16, s10
	s_mov_b32 s2, s12
	s_cbranch_scc1 .LBB13_412
; %bb.411:
	s_sub_i32 s16, s10, 32
	s_add_i32 s2, s12, 1
.LBB13_412:
	s_cbranch_execz .LBB13_414
	s_branch .LBB13_415
.LBB13_413:
                                        ; implicit-def: $sgpr16
                                        ; implicit-def: $sgpr2
.LBB13_414:
	s_sub_i32 s16, s10, 64
	s_add_i32 s2, s12, 2
.LBB13_415:
	s_mul_i32 s8, s2, s14
	s_waitcnt vmcnt(0)
	v_add_u32_e32 v2, s8, v0
	v_mov_b32_e32 v3, 0
	v_lshl_add_u64 v[2:3], v[2:3], 2, s[4:5]
	global_load_dword v2, v[2:3], off
	s_cmp_lt_i32 s15, 21
	s_mov_b64 s[8:9], 0
	s_cbranch_scc1 .LBB13_418
; %bb.416:
	s_cmp_eq_u32 s15, 21
	s_cbranch_scc0 .LBB13_419
; %bb.417:
	s_add_i32 s10, s2, 1
	s_mul_i32 s10, s10, s14
	v_add_u32_e32 v4, s10, v0
	v_mov_b32_e32 v5, 0
	v_lshl_add_u64 v[4:5], v[4:5], 2, s[4:5]
	global_load_dword v3, v[4:5], off
	s_mov_b64 s[10:11], 0
	s_waitcnt vmcnt(0)
	v_alignbit_b32 v3, v3, v2, 31
	v_and_b32_e32 v21, 7, v3
	s_branch .LBB13_420
.LBB13_418:
                                        ; implicit-def: $vgpr21
	s_mov_b64 s[10:11], 0
	s_cbranch_execnz .LBB13_421
	s_branch .LBB13_422
.LBB13_419:
	s_mov_b64 s[10:11], -1
                                        ; implicit-def: $vgpr21
.LBB13_420:
	s_branch .LBB13_422
.LBB13_421:
	s_cmp_lg_u32 s15, 10
	s_mov_b64 s[8:9], -1
	s_cselect_b64 s[10:11], -1, 0
.LBB13_422:
	s_andn2_b64 vcc, exec, s[10:11]
	s_cbranch_vccz .LBB13_428
; %bb.423:
	s_andn2_b64 vcc, exec, s[8:9]
	s_cbranch_vccnz .LBB13_425
.LBB13_424:
	s_add_i32 s2, s2, 1
	s_mul_i32 s2, s2, s14
	v_add_u32_e32 v4, s2, v0
	v_mov_b32_e32 v5, 0
	v_lshl_add_u64 v[4:5], v[4:5], 2, s[4:5]
	global_load_dword v3, v[4:5], off
	s_waitcnt vmcnt(0)
	v_alignbit_b32 v2, v3, v2, 30
	v_and_b32_e32 v21, 7, v2
.LBB13_425:
	s_load_dword s2, s[0:1], 0x44
	s_waitcnt lgkmcnt(0)
	s_ashr_i32 s8, s2, 31
	s_lshr_b32 s8, s8, 27
	s_add_i32 s8, s2, s8
	s_ashr_i32 s12, s8, 5
	s_andn2_b32 s8, s8, 31
	s_sub_i32 s15, s2, s8
	s_cmp_lt_i32 s15, 21
	s_mul_i32 s12, s12, 3
	s_cbranch_scc1 .LBB13_429
; %bb.426:
	s_cmp_eq_u32 s15, 21
	s_cbranch_scc0 .LBB13_430
; %bb.427:
	s_add_i32 s2, s12, 1
	s_mov_b64 s[8:9], 0
	s_branch .LBB13_431
.LBB13_428:
	v_mov_b32_e32 v3, 0
	s_waitcnt vmcnt(0)
	v_lshrrev_b64 v[4:5], s16, v[2:3]
	v_and_b32_e32 v21, 7, v4
	s_cbranch_execz .LBB13_424
	s_branch .LBB13_425
.LBB13_429:
	s_mov_b64 s[8:9], 0
                                        ; implicit-def: $sgpr2
	s_cbranch_execnz .LBB13_432
	s_branch .LBB13_433
.LBB13_430:
	s_mov_b64 s[8:9], -1
                                        ; implicit-def: $sgpr2
.LBB13_431:
	s_branch .LBB13_433
.LBB13_432:
	s_cmp_lg_u32 s15, 10
	s_cselect_b64 s[8:9], -1, 0
	s_mov_b32 s2, s12
.LBB13_433:
	s_andn2_b64 vcc, exec, s[8:9]
	s_mov_b32 s16, 16
	s_cbranch_vccnz .LBB13_440
; %bb.434:
	s_cmp_gt_i32 s15, 21
	s_mul_i32 s10, s15, 3
	s_cbranch_scc1 .LBB13_438
; %bb.435:
	s_cmp_lt_i32 s15, 11
	s_mov_b32 s16, s10
	s_mov_b32 s2, s12
	s_cbranch_scc1 .LBB13_437
; %bb.436:
	s_sub_i32 s16, s10, 32
	s_add_i32 s2, s12, 1
.LBB13_437:
	s_cbranch_execz .LBB13_439
	s_branch .LBB13_440
.LBB13_438:
                                        ; implicit-def: $sgpr16
                                        ; implicit-def: $sgpr2
.LBB13_439:
	s_sub_i32 s16, s10, 64
	s_add_i32 s2, s12, 2
.LBB13_440:
	s_mul_i32 s8, s2, s14
	s_waitcnt vmcnt(0)
	v_add_u32_e32 v2, s8, v0
	v_mov_b32_e32 v3, 0
	v_lshl_add_u64 v[2:3], v[2:3], 2, s[4:5]
	global_load_dword v2, v[2:3], off
	s_cmp_lt_i32 s15, 21
	s_mov_b64 s[8:9], 0
	s_cbranch_scc1 .LBB13_443
; %bb.441:
	s_cmp_eq_u32 s15, 21
	s_cbranch_scc0 .LBB13_444
; %bb.442:
	s_add_i32 s10, s2, 1
	s_mul_i32 s10, s10, s14
	v_add_u32_e32 v4, s10, v0
	v_mov_b32_e32 v5, 0
	v_lshl_add_u64 v[4:5], v[4:5], 2, s[4:5]
	global_load_dword v3, v[4:5], off
	s_mov_b64 s[10:11], 0
	s_waitcnt vmcnt(0)
	v_alignbit_b32 v3, v3, v2, 31
	v_and_b32_e32 v22, 7, v3
	s_branch .LBB13_445
.LBB13_443:
                                        ; implicit-def: $vgpr22
	s_mov_b64 s[10:11], 0
	s_cbranch_execnz .LBB13_446
	s_branch .LBB13_447
.LBB13_444:
	s_mov_b64 s[10:11], -1
                                        ; implicit-def: $vgpr22
.LBB13_445:
	s_branch .LBB13_447
.LBB13_446:
	s_cmp_lg_u32 s15, 10
	s_mov_b64 s[8:9], -1
	s_cselect_b64 s[10:11], -1, 0
.LBB13_447:
	s_andn2_b64 vcc, exec, s[10:11]
	s_cbranch_vccz .LBB13_453
; %bb.448:
	s_andn2_b64 vcc, exec, s[8:9]
	s_cbranch_vccnz .LBB13_450
.LBB13_449:
	s_add_i32 s2, s2, 1
	s_mul_i32 s2, s2, s14
	v_add_u32_e32 v4, s2, v0
	v_mov_b32_e32 v5, 0
	v_lshl_add_u64 v[4:5], v[4:5], 2, s[4:5]
	global_load_dword v3, v[4:5], off
	s_waitcnt vmcnt(0)
	v_alignbit_b32 v2, v3, v2, 30
	v_and_b32_e32 v22, 7, v2
.LBB13_450:
	s_load_dword s2, s[0:1], 0x48
	s_waitcnt lgkmcnt(0)
	s_ashr_i32 s8, s2, 31
	s_lshr_b32 s8, s8, 27
	s_add_i32 s8, s2, s8
	s_ashr_i32 s12, s8, 5
	s_andn2_b32 s8, s8, 31
	s_sub_i32 s15, s2, s8
	s_cmp_lt_i32 s15, 21
	s_mul_i32 s12, s12, 3
	s_cbranch_scc1 .LBB13_454
; %bb.451:
	s_cmp_eq_u32 s15, 21
	s_cbranch_scc0 .LBB13_455
; %bb.452:
	s_add_i32 s2, s12, 1
	s_mov_b64 s[8:9], 0
	s_branch .LBB13_456
.LBB13_453:
	v_mov_b32_e32 v3, 0
	s_waitcnt vmcnt(0)
	v_lshrrev_b64 v[4:5], s16, v[2:3]
	v_and_b32_e32 v22, 7, v4
	s_cbranch_execz .LBB13_449
	s_branch .LBB13_450
.LBB13_454:
	s_mov_b64 s[8:9], 0
                                        ; implicit-def: $sgpr2
	s_cbranch_execnz .LBB13_457
	s_branch .LBB13_458
.LBB13_455:
	s_mov_b64 s[8:9], -1
                                        ; implicit-def: $sgpr2
.LBB13_456:
	s_branch .LBB13_458
.LBB13_457:
	s_cmp_lg_u32 s15, 10
	s_cselect_b64 s[8:9], -1, 0
	s_mov_b32 s2, s12
.LBB13_458:
	s_andn2_b64 vcc, exec, s[8:9]
	s_mov_b32 s16, 19
	s_cbranch_vccnz .LBB13_465
; %bb.459:
	s_cmp_gt_i32 s15, 21
	s_mul_i32 s10, s15, 3
	s_cbranch_scc1 .LBB13_463
; %bb.460:
	s_cmp_lt_i32 s15, 11
	s_mov_b32 s16, s10
	s_mov_b32 s2, s12
	s_cbranch_scc1 .LBB13_462
; %bb.461:
	s_sub_i32 s16, s10, 32
	s_add_i32 s2, s12, 1
.LBB13_462:
	s_cbranch_execz .LBB13_464
	s_branch .LBB13_465
.LBB13_463:
                                        ; implicit-def: $sgpr16
                                        ; implicit-def: $sgpr2
.LBB13_464:
	s_sub_i32 s16, s10, 64
	s_add_i32 s2, s12, 2
.LBB13_465:
	s_mul_i32 s8, s2, s14
	s_waitcnt vmcnt(0)
	v_add_u32_e32 v2, s8, v0
	v_mov_b32_e32 v3, 0
	v_lshl_add_u64 v[2:3], v[2:3], 2, s[4:5]
	global_load_dword v2, v[2:3], off
	s_cmp_lt_i32 s15, 21
	s_mov_b64 s[8:9], 0
	s_cbranch_scc1 .LBB13_468
; %bb.466:
	s_cmp_eq_u32 s15, 21
	s_cbranch_scc0 .LBB13_469
; %bb.467:
	s_add_i32 s10, s2, 1
	s_mul_i32 s10, s10, s14
	v_add_u32_e32 v4, s10, v0
	v_mov_b32_e32 v5, 0
	v_lshl_add_u64 v[4:5], v[4:5], 2, s[4:5]
	global_load_dword v3, v[4:5], off
	s_mov_b64 s[10:11], 0
	s_waitcnt vmcnt(0)
	v_alignbit_b32 v3, v3, v2, 31
	v_and_b32_e32 v23, 7, v3
	s_branch .LBB13_470
.LBB13_468:
                                        ; implicit-def: $vgpr23
	s_mov_b64 s[10:11], 0
	s_cbranch_execnz .LBB13_471
	s_branch .LBB13_472
.LBB13_469:
	s_mov_b64 s[10:11], -1
                                        ; implicit-def: $vgpr23
.LBB13_470:
	s_branch .LBB13_472
.LBB13_471:
	s_cmp_lg_u32 s15, 10
	s_mov_b64 s[8:9], -1
	s_cselect_b64 s[10:11], -1, 0
.LBB13_472:
	s_andn2_b64 vcc, exec, s[10:11]
	s_cbranch_vccz .LBB13_478
; %bb.473:
	s_andn2_b64 vcc, exec, s[8:9]
	s_cbranch_vccnz .LBB13_475
.LBB13_474:
	s_add_i32 s2, s2, 1
	s_mul_i32 s2, s2, s14
	v_add_u32_e32 v4, s2, v0
	v_mov_b32_e32 v5, 0
	v_lshl_add_u64 v[4:5], v[4:5], 2, s[4:5]
	global_load_dword v3, v[4:5], off
	s_waitcnt vmcnt(0)
	v_alignbit_b32 v2, v3, v2, 30
	v_and_b32_e32 v23, 7, v2
.LBB13_475:
	s_load_dword s2, s[0:1], 0x4c
	s_waitcnt lgkmcnt(0)
	s_ashr_i32 s8, s2, 31
	s_lshr_b32 s8, s8, 27
	s_add_i32 s8, s2, s8
	s_ashr_i32 s12, s8, 5
	s_andn2_b32 s8, s8, 31
	s_sub_i32 s15, s2, s8
	s_cmp_lt_i32 s15, 21
	s_mul_i32 s12, s12, 3
	s_cbranch_scc1 .LBB13_479
; %bb.476:
	s_cmp_eq_u32 s15, 21
	s_cbranch_scc0 .LBB13_480
; %bb.477:
	s_add_i32 s2, s12, 1
	s_mov_b64 s[8:9], 0
	s_branch .LBB13_481
.LBB13_478:
	v_mov_b32_e32 v3, 0
	s_waitcnt vmcnt(0)
	v_lshrrev_b64 v[4:5], s16, v[2:3]
	v_and_b32_e32 v23, 7, v4
	s_cbranch_execz .LBB13_474
	s_branch .LBB13_475
.LBB13_479:
	s_mov_b64 s[8:9], 0
                                        ; implicit-def: $sgpr2
	s_cbranch_execnz .LBB13_482
	s_branch .LBB13_483
.LBB13_480:
	s_mov_b64 s[8:9], -1
                                        ; implicit-def: $sgpr2
.LBB13_481:
	s_branch .LBB13_483
.LBB13_482:
	s_cmp_lg_u32 s15, 10
	s_cselect_b64 s[8:9], -1, 0
	s_mov_b32 s2, s12
.LBB13_483:
	s_andn2_b64 vcc, exec, s[8:9]
	s_mov_b32 s16, 22
	s_cbranch_vccnz .LBB13_490
; %bb.484:
	s_cmp_gt_i32 s15, 21
	s_mul_i32 s10, s15, 3
	s_cbranch_scc1 .LBB13_488
; %bb.485:
	s_cmp_lt_i32 s15, 11
	s_mov_b32 s16, s10
	s_mov_b32 s2, s12
	s_cbranch_scc1 .LBB13_487
; %bb.486:
	s_sub_i32 s16, s10, 32
	s_add_i32 s2, s12, 1
.LBB13_487:
	s_cbranch_execz .LBB13_489
	s_branch .LBB13_490
.LBB13_488:
                                        ; implicit-def: $sgpr16
                                        ; implicit-def: $sgpr2
.LBB13_489:
	s_sub_i32 s16, s10, 64
	s_add_i32 s2, s12, 2
.LBB13_490:
	s_mul_i32 s8, s2, s14
	s_waitcnt vmcnt(0)
	v_add_u32_e32 v2, s8, v0
	v_mov_b32_e32 v3, 0
	v_lshl_add_u64 v[2:3], v[2:3], 2, s[4:5]
	global_load_dword v2, v[2:3], off
	s_cmp_lt_i32 s15, 21
	s_mov_b64 s[8:9], 0
	s_cbranch_scc1 .LBB13_493
; %bb.491:
	s_cmp_eq_u32 s15, 21
	s_cbranch_scc0 .LBB13_494
; %bb.492:
	s_add_i32 s10, s2, 1
	s_mul_i32 s10, s10, s14
	v_add_u32_e32 v4, s10, v0
	v_mov_b32_e32 v5, 0
	v_lshl_add_u64 v[4:5], v[4:5], 2, s[4:5]
	global_load_dword v3, v[4:5], off
	s_mov_b64 s[10:11], 0
	s_waitcnt vmcnt(0)
	v_alignbit_b32 v3, v3, v2, 31
	v_and_b32_e32 v24, 7, v3
	s_branch .LBB13_495
.LBB13_493:
                                        ; implicit-def: $vgpr24
	s_mov_b64 s[10:11], 0
	s_cbranch_execnz .LBB13_496
	s_branch .LBB13_497
.LBB13_494:
	s_mov_b64 s[10:11], -1
                                        ; implicit-def: $vgpr24
.LBB13_495:
	s_branch .LBB13_497
.LBB13_496:
	s_cmp_lg_u32 s15, 10
	s_mov_b64 s[8:9], -1
	s_cselect_b64 s[10:11], -1, 0
.LBB13_497:
	s_andn2_b64 vcc, exec, s[10:11]
	s_cbranch_vccz .LBB13_503
; %bb.498:
	s_andn2_b64 vcc, exec, s[8:9]
	s_cbranch_vccnz .LBB13_500
.LBB13_499:
	s_add_i32 s2, s2, 1
	s_mul_i32 s2, s2, s14
	v_add_u32_e32 v4, s2, v0
	v_mov_b32_e32 v5, 0
	v_lshl_add_u64 v[4:5], v[4:5], 2, s[4:5]
	global_load_dword v3, v[4:5], off
	s_waitcnt vmcnt(0)
	v_alignbit_b32 v2, v3, v2, 30
	v_and_b32_e32 v24, 7, v2
.LBB13_500:
	s_load_dword s2, s[0:1], 0x50
	s_waitcnt lgkmcnt(0)
	s_ashr_i32 s8, s2, 31
	s_lshr_b32 s8, s8, 27
	s_add_i32 s8, s2, s8
	s_ashr_i32 s12, s8, 5
	s_andn2_b32 s8, s8, 31
	s_sub_i32 s15, s2, s8
	s_cmp_lt_i32 s15, 21
	s_mul_i32 s12, s12, 3
	s_cbranch_scc1 .LBB13_504
; %bb.501:
	s_cmp_eq_u32 s15, 21
	s_cbranch_scc0 .LBB13_505
; %bb.502:
	s_add_i32 s2, s12, 1
	s_mov_b64 s[8:9], 0
	s_branch .LBB13_506
.LBB13_503:
	v_mov_b32_e32 v3, 0
	s_waitcnt vmcnt(0)
	v_lshrrev_b64 v[4:5], s16, v[2:3]
	v_and_b32_e32 v24, 7, v4
	s_cbranch_execz .LBB13_499
	s_branch .LBB13_500
.LBB13_504:
	s_mov_b64 s[8:9], 0
                                        ; implicit-def: $sgpr2
	s_cbranch_execnz .LBB13_507
	s_branch .LBB13_508
.LBB13_505:
	s_mov_b64 s[8:9], -1
                                        ; implicit-def: $sgpr2
.LBB13_506:
	s_branch .LBB13_508
.LBB13_507:
	s_cmp_lg_u32 s15, 10
	s_cselect_b64 s[8:9], -1, 0
	s_mov_b32 s2, s12
.LBB13_508:
	s_andn2_b64 vcc, exec, s[8:9]
	s_mov_b32 s16, 25
	s_cbranch_vccnz .LBB13_515
; %bb.509:
	s_cmp_gt_i32 s15, 21
	s_mul_i32 s10, s15, 3
	s_cbranch_scc1 .LBB13_513
; %bb.510:
	s_cmp_lt_i32 s15, 11
	s_mov_b32 s16, s10
	s_mov_b32 s2, s12
	s_cbranch_scc1 .LBB13_512
; %bb.511:
	s_sub_i32 s16, s10, 32
	s_add_i32 s2, s12, 1
.LBB13_512:
	s_cbranch_execz .LBB13_514
	s_branch .LBB13_515
.LBB13_513:
                                        ; implicit-def: $sgpr16
                                        ; implicit-def: $sgpr2
.LBB13_514:
	s_sub_i32 s16, s10, 64
	s_add_i32 s2, s12, 2
.LBB13_515:
	s_mul_i32 s8, s2, s14
	s_waitcnt vmcnt(0)
	v_add_u32_e32 v2, s8, v0
	v_mov_b32_e32 v3, 0
	v_lshl_add_u64 v[2:3], v[2:3], 2, s[4:5]
	global_load_dword v2, v[2:3], off
	s_cmp_lt_i32 s15, 21
	s_mov_b64 s[8:9], 0
	s_cbranch_scc1 .LBB13_518
; %bb.516:
	s_cmp_eq_u32 s15, 21
	s_cbranch_scc0 .LBB13_519
; %bb.517:
	s_add_i32 s10, s2, 1
	s_mul_i32 s10, s10, s14
	v_add_u32_e32 v4, s10, v0
	v_mov_b32_e32 v5, 0
	v_lshl_add_u64 v[4:5], v[4:5], 2, s[4:5]
	global_load_dword v3, v[4:5], off
	s_mov_b64 s[10:11], 0
	s_waitcnt vmcnt(0)
	v_alignbit_b32 v3, v3, v2, 31
	v_and_b32_e32 v25, 7, v3
	s_branch .LBB13_520
.LBB13_518:
                                        ; implicit-def: $vgpr25
	s_mov_b64 s[10:11], 0
	s_cbranch_execnz .LBB13_521
	s_branch .LBB13_522
.LBB13_519:
	s_mov_b64 s[10:11], -1
                                        ; implicit-def: $vgpr25
.LBB13_520:
	s_branch .LBB13_522
.LBB13_521:
	s_cmp_lg_u32 s15, 10
	s_mov_b64 s[8:9], -1
	s_cselect_b64 s[10:11], -1, 0
.LBB13_522:
	s_andn2_b64 vcc, exec, s[10:11]
	s_cbranch_vccz .LBB13_528
; %bb.523:
	s_andn2_b64 vcc, exec, s[8:9]
	s_cbranch_vccnz .LBB13_525
.LBB13_524:
	s_add_i32 s2, s2, 1
	s_mul_i32 s2, s2, s14
	v_add_u32_e32 v4, s2, v0
	v_mov_b32_e32 v5, 0
	v_lshl_add_u64 v[4:5], v[4:5], 2, s[4:5]
	global_load_dword v3, v[4:5], off
	s_waitcnt vmcnt(0)
	v_alignbit_b32 v2, v3, v2, 30
	v_and_b32_e32 v25, 7, v2
.LBB13_525:
	s_load_dword s2, s[0:1], 0x54
	s_waitcnt lgkmcnt(0)
	s_ashr_i32 s8, s2, 31
	s_lshr_b32 s8, s8, 27
	s_add_i32 s8, s2, s8
	s_ashr_i32 s12, s8, 5
	s_andn2_b32 s8, s8, 31
	s_sub_i32 s16, s2, s8
	s_cmp_lt_i32 s16, 21
	s_mul_i32 s12, s12, 3
	s_cbranch_scc1 .LBB13_529
; %bb.526:
	s_cmp_eq_u32 s16, 21
	s_cbranch_scc0 .LBB13_530
; %bb.527:
	s_add_i32 s15, s12, 1
	s_mov_b64 s[8:9], 0
	s_branch .LBB13_531
.LBB13_528:
	v_mov_b32_e32 v3, 0
	s_waitcnt vmcnt(0)
	v_lshrrev_b64 v[4:5], s16, v[2:3]
	v_and_b32_e32 v25, 7, v4
	s_cbranch_execz .LBB13_524
	s_branch .LBB13_525
.LBB13_529:
	s_mov_b64 s[8:9], 0
                                        ; implicit-def: $sgpr15
	s_cbranch_execnz .LBB13_532
	s_branch .LBB13_533
.LBB13_530:
	s_mov_b64 s[8:9], -1
                                        ; implicit-def: $sgpr15
.LBB13_531:
	s_branch .LBB13_533
.LBB13_532:
	s_cmp_lg_u32 s16, 10
	s_cselect_b64 s[8:9], -1, 0
	s_mov_b32 s15, s12
.LBB13_533:
	s_andn2_b64 vcc, exec, s[8:9]
	s_mov_b32 s2, 28
	s_cbranch_vccnz .LBB13_540
; %bb.534:
	s_cmp_gt_i32 s16, 21
	s_mul_i32 s10, s16, 3
	s_cbranch_scc1 .LBB13_538
; %bb.535:
	s_cmp_lt_i32 s16, 11
	s_mov_b32 s2, s10
	s_mov_b32 s15, s12
	s_cbranch_scc1 .LBB13_537
; %bb.536:
	s_sub_i32 s2, s10, 32
	s_add_i32 s15, s12, 1
.LBB13_537:
	s_cbranch_execz .LBB13_539
	s_branch .LBB13_540
.LBB13_538:
                                        ; implicit-def: $sgpr2
                                        ; implicit-def: $sgpr15
.LBB13_539:
	s_sub_i32 s2, s10, 64
	s_add_i32 s15, s12, 2
.LBB13_540:
	s_mul_i32 s8, s15, s14
	s_waitcnt vmcnt(0)
	v_add_u32_e32 v2, s8, v0
	v_mov_b32_e32 v3, 0
	v_lshl_add_u64 v[2:3], v[2:3], 2, s[4:5]
	global_load_dword v2, v[2:3], off
	s_cmp_lt_i32 s16, 21
	s_mov_b64 s[8:9], 0
	s_cbranch_scc1 .LBB13_543
; %bb.541:
	s_cmp_eq_u32 s16, 21
	s_cbranch_scc0 .LBB13_544
; %bb.542:
	s_add_i32 s10, s15, 1
	s_mul_i32 s10, s10, s14
	v_add_u32_e32 v4, s10, v0
	v_mov_b32_e32 v5, 0
	v_lshl_add_u64 v[4:5], v[4:5], 2, s[4:5]
	global_load_dword v3, v[4:5], off
	s_mov_b64 s[10:11], 0
	s_waitcnt vmcnt(0)
	v_alignbit_b32 v3, v3, v2, 31
	v_and_b32_e32 v26, 7, v3
	s_branch .LBB13_545
.LBB13_543:
                                        ; implicit-def: $vgpr26
	s_mov_b64 s[10:11], 0
	s_cbranch_execnz .LBB13_546
	s_branch .LBB13_547
.LBB13_544:
	s_mov_b64 s[10:11], -1
                                        ; implicit-def: $vgpr26
.LBB13_545:
	s_branch .LBB13_547
.LBB13_546:
	s_cmp_lg_u32 s16, 10
	s_mov_b64 s[8:9], -1
	s_cselect_b64 s[10:11], -1, 0
.LBB13_547:
	s_andn2_b64 vcc, exec, s[10:11]
	s_cbranch_vccz .LBB13_553
; %bb.548:
	s_andn2_b64 vcc, exec, s[8:9]
	s_cbranch_vccnz .LBB13_550
.LBB13_549:
	s_add_i32 s8, s15, 1
	s_mul_i32 s8, s8, s14
	v_add_u32_e32 v4, s8, v0
	v_mov_b32_e32 v5, 0
	v_lshl_add_u64 v[4:5], v[4:5], 2, s[4:5]
	global_load_dword v3, v[4:5], off
	s_waitcnt vmcnt(0)
	v_alignbit_b32 v2, v3, v2, 30
	v_and_b32_e32 v26, 7, v2
.LBB13_550:
	s_load_dword s8, s[0:1], 0x58
	s_waitcnt lgkmcnt(0)
	s_ashr_i32 s9, s8, 31
	s_lshr_b32 s9, s9, 27
	s_add_i32 s9, s8, s9
	s_ashr_i32 s12, s9, 5
	s_andn2_b32 s9, s9, 31
	s_sub_i32 s16, s8, s9
	s_cmp_lt_i32 s16, 21
	s_mul_i32 s12, s12, 3
	s_cbranch_scc1 .LBB13_554
; %bb.551:
	s_cmp_eq_u32 s16, 21
	s_cbranch_scc0 .LBB13_555
; %bb.552:
	s_add_i32 s15, s12, 1
	s_mov_b64 s[8:9], 0
	s_branch .LBB13_556
.LBB13_553:
	v_mov_b32_e32 v3, 0
	s_waitcnt vmcnt(0)
	v_lshrrev_b64 v[4:5], s2, v[2:3]
	v_and_b32_e32 v26, 7, v4
	s_cbranch_execz .LBB13_549
	s_branch .LBB13_550
.LBB13_554:
	s_mov_b64 s[8:9], 0
                                        ; implicit-def: $sgpr15
	s_cbranch_execnz .LBB13_557
	s_branch .LBB13_558
.LBB13_555:
	s_mov_b64 s[8:9], -1
                                        ; implicit-def: $sgpr15
.LBB13_556:
	s_branch .LBB13_558
.LBB13_557:
	s_cmp_lg_u32 s16, 10
	s_cselect_b64 s[8:9], -1, 0
	s_mov_b32 s15, s12
.LBB13_558:
	s_andn2_b64 vcc, exec, s[8:9]
	s_cbranch_vccnz .LBB13_565
; %bb.559:
	s_cmp_gt_i32 s16, 21
	s_mul_i32 s10, s16, 3
	s_cbranch_scc1 .LBB13_563
; %bb.560:
	s_cmp_lt_i32 s16, 11
	s_mov_b32 s2, s10
	s_mov_b32 s15, s12
	s_cbranch_scc1 .LBB13_562
; %bb.561:
	s_sub_i32 s2, s10, 32
	s_add_i32 s15, s12, 1
.LBB13_562:
	s_cbranch_execz .LBB13_564
	s_branch .LBB13_565
.LBB13_563:
                                        ; implicit-def: $sgpr2
                                        ; implicit-def: $sgpr15
.LBB13_564:
	s_sub_i32 s2, s10, 64
	s_add_i32 s15, s12, 2
.LBB13_565:
	s_mul_i32 s8, s15, s14
	s_waitcnt vmcnt(0)
	v_add_u32_e32 v2, s8, v0
	v_mov_b32_e32 v3, 0
	v_lshl_add_u64 v[2:3], v[2:3], 2, s[4:5]
	global_load_dword v2, v[2:3], off
	s_cmp_lt_i32 s16, 21
	s_mov_b64 s[8:9], 0
	s_cbranch_scc1 .LBB13_568
; %bb.566:
	s_cmp_eq_u32 s16, 21
	s_cbranch_scc0 .LBB13_569
; %bb.567:
	s_add_i32 s10, s15, 1
	s_mul_i32 s10, s10, s14
	v_add_u32_e32 v4, s10, v0
	v_mov_b32_e32 v5, 0
	v_lshl_add_u64 v[4:5], v[4:5], 2, s[4:5]
	global_load_dword v3, v[4:5], off
	s_mov_b64 s[10:11], 0
	s_waitcnt vmcnt(0)
	v_alignbit_b32 v3, v3, v2, 31
	v_and_b32_e32 v27, 7, v3
	s_branch .LBB13_570
.LBB13_568:
                                        ; implicit-def: $vgpr27
	s_mov_b64 s[10:11], 0
	s_cbranch_execnz .LBB13_571
	s_branch .LBB13_572
.LBB13_569:
	s_mov_b64 s[10:11], -1
                                        ; implicit-def: $vgpr27
.LBB13_570:
	s_branch .LBB13_572
.LBB13_571:
	s_cmp_lg_u32 s16, 10
	s_mov_b64 s[8:9], -1
	s_cselect_b64 s[10:11], -1, 0
.LBB13_572:
	s_andn2_b64 vcc, exec, s[10:11]
	s_cbranch_vccz .LBB13_578
; %bb.573:
	s_andn2_b64 vcc, exec, s[8:9]
	s_cbranch_vccnz .LBB13_575
.LBB13_574:
	s_add_i32 s2, s15, 1
	s_mul_i32 s2, s2, s14
	v_add_u32_e32 v4, s2, v0
	v_mov_b32_e32 v5, 0
	v_lshl_add_u64 v[4:5], v[4:5], 2, s[4:5]
	global_load_dword v3, v[4:5], off
	s_waitcnt vmcnt(0)
	v_alignbit_b32 v2, v3, v2, 30
	v_and_b32_e32 v27, 7, v2
.LBB13_575:
	s_load_dword s2, s[0:1], 0x5c
	s_waitcnt lgkmcnt(0)
	s_ashr_i32 s8, s2, 31
	s_lshr_b32 s8, s8, 27
	s_add_i32 s8, s2, s8
	s_ashr_i32 s12, s8, 5
	s_andn2_b32 s8, s8, 31
	s_sub_i32 s15, s2, s8
	s_cmp_lt_i32 s15, 21
	s_mul_i32 s12, s12, 3
	s_cbranch_scc1 .LBB13_579
; %bb.576:
	s_cmp_eq_u32 s15, 21
	s_cbranch_scc0 .LBB13_580
; %bb.577:
	s_add_i32 s2, s12, 1
	s_mov_b64 s[8:9], 0
	s_branch .LBB13_581
.LBB13_578:
	v_mov_b32_e32 v3, 0
	s_waitcnt vmcnt(0)
	v_lshrrev_b64 v[4:5], s2, v[2:3]
	v_and_b32_e32 v27, 7, v4
	s_cbranch_execz .LBB13_574
	s_branch .LBB13_575
.LBB13_579:
	s_mov_b64 s[8:9], 0
                                        ; implicit-def: $sgpr2
	s_cbranch_execnz .LBB13_582
	s_branch .LBB13_583
.LBB13_580:
	s_mov_b64 s[8:9], -1
                                        ; implicit-def: $sgpr2
.LBB13_581:
	s_branch .LBB13_583
.LBB13_582:
	s_cmp_lg_u32 s15, 10
	s_cselect_b64 s[8:9], -1, 0
	s_mov_b32 s2, s12
.LBB13_583:
	s_andn2_b64 vcc, exec, s[8:9]
	s_mov_b32 s16, 2
	s_cbranch_vccnz .LBB13_590
; %bb.584:
	s_cmp_gt_i32 s15, 21
	s_mul_i32 s10, s15, 3
	s_cbranch_scc1 .LBB13_588
; %bb.585:
	s_cmp_lt_i32 s15, 11
	s_mov_b32 s16, s10
	s_mov_b32 s2, s12
	s_cbranch_scc1 .LBB13_587
; %bb.586:
	s_sub_i32 s16, s10, 32
	s_add_i32 s2, s12, 1
.LBB13_587:
	s_cbranch_execz .LBB13_589
	s_branch .LBB13_590
.LBB13_588:
                                        ; implicit-def: $sgpr16
                                        ; implicit-def: $sgpr2
.LBB13_589:
	s_sub_i32 s16, s10, 64
	s_add_i32 s2, s12, 2
.LBB13_590:
	s_mul_i32 s8, s2, s14
	s_waitcnt vmcnt(0)
	v_add_u32_e32 v2, s8, v0
	v_mov_b32_e32 v3, 0
	v_lshl_add_u64 v[2:3], v[2:3], 2, s[4:5]
	global_load_dword v2, v[2:3], off
	s_cmp_lt_i32 s15, 21
	s_mov_b64 s[8:9], 0
	s_cbranch_scc1 .LBB13_593
; %bb.591:
	s_cmp_eq_u32 s15, 21
	s_cbranch_scc0 .LBB13_594
; %bb.592:
	s_add_i32 s10, s2, 1
	s_mul_i32 s10, s10, s14
	v_add_u32_e32 v4, s10, v0
	v_mov_b32_e32 v5, 0
	v_lshl_add_u64 v[4:5], v[4:5], 2, s[4:5]
	global_load_dword v3, v[4:5], off
	s_mov_b64 s[10:11], 0
	s_waitcnt vmcnt(0)
	v_alignbit_b32 v3, v3, v2, 31
	v_and_b32_e32 v28, 7, v3
	s_branch .LBB13_595
.LBB13_593:
                                        ; implicit-def: $vgpr28
	s_mov_b64 s[10:11], 0
	s_cbranch_execnz .LBB13_596
	s_branch .LBB13_597
.LBB13_594:
	s_mov_b64 s[10:11], -1
                                        ; implicit-def: $vgpr28
.LBB13_595:
	s_branch .LBB13_597
.LBB13_596:
	s_cmp_lg_u32 s15, 10
	s_mov_b64 s[8:9], -1
	s_cselect_b64 s[10:11], -1, 0
.LBB13_597:
	s_andn2_b64 vcc, exec, s[10:11]
	s_cbranch_vccz .LBB13_603
; %bb.598:
	s_andn2_b64 vcc, exec, s[8:9]
	s_cbranch_vccnz .LBB13_600
.LBB13_599:
	s_add_i32 s2, s2, 1
	s_mul_i32 s2, s2, s14
	v_add_u32_e32 v4, s2, v0
	v_mov_b32_e32 v5, 0
	v_lshl_add_u64 v[4:5], v[4:5], 2, s[4:5]
	global_load_dword v3, v[4:5], off
	s_waitcnt vmcnt(0)
	v_alignbit_b32 v2, v3, v2, 30
	v_and_b32_e32 v28, 7, v2
.LBB13_600:
	s_load_dword s2, s[0:1], 0x60
	s_waitcnt lgkmcnt(0)
	s_ashr_i32 s8, s2, 31
	s_lshr_b32 s8, s8, 27
	s_add_i32 s8, s2, s8
	s_ashr_i32 s12, s8, 5
	s_andn2_b32 s8, s8, 31
	s_sub_i32 s15, s2, s8
	s_cmp_lt_i32 s15, 21
	s_mul_i32 s12, s12, 3
	s_cbranch_scc1 .LBB13_604
; %bb.601:
	s_cmp_eq_u32 s15, 21
	s_cbranch_scc0 .LBB13_605
; %bb.602:
	s_add_i32 s2, s12, 1
	s_mov_b64 s[8:9], 0
	s_branch .LBB13_606
.LBB13_603:
	v_mov_b32_e32 v3, 0
	s_waitcnt vmcnt(0)
	v_lshrrev_b64 v[4:5], s16, v[2:3]
	v_and_b32_e32 v28, 7, v4
	s_cbranch_execz .LBB13_599
	s_branch .LBB13_600
.LBB13_604:
	s_mov_b64 s[8:9], 0
                                        ; implicit-def: $sgpr2
	s_cbranch_execnz .LBB13_607
	s_branch .LBB13_608
.LBB13_605:
	s_mov_b64 s[8:9], -1
                                        ; implicit-def: $sgpr2
.LBB13_606:
	s_branch .LBB13_608
.LBB13_607:
	s_cmp_lg_u32 s15, 10
	s_cselect_b64 s[8:9], -1, 0
	s_mov_b32 s2, s12
.LBB13_608:
	s_andn2_b64 vcc, exec, s[8:9]
	s_mov_b32 s16, 5
	s_cbranch_vccnz .LBB13_615
; %bb.609:
	s_cmp_gt_i32 s15, 21
	s_mul_i32 s10, s15, 3
	s_cbranch_scc1 .LBB13_613
; %bb.610:
	s_cmp_lt_i32 s15, 11
	s_mov_b32 s16, s10
	s_mov_b32 s2, s12
	s_cbranch_scc1 .LBB13_612
; %bb.611:
	s_sub_i32 s16, s10, 32
	s_add_i32 s2, s12, 1
.LBB13_612:
	s_cbranch_execz .LBB13_614
	s_branch .LBB13_615
.LBB13_613:
                                        ; implicit-def: $sgpr16
                                        ; implicit-def: $sgpr2
.LBB13_614:
	s_sub_i32 s16, s10, 64
	s_add_i32 s2, s12, 2
.LBB13_615:
	s_mul_i32 s8, s2, s14
	s_waitcnt vmcnt(0)
	v_add_u32_e32 v2, s8, v0
	v_mov_b32_e32 v3, 0
	v_lshl_add_u64 v[2:3], v[2:3], 2, s[4:5]
	global_load_dword v2, v[2:3], off
	s_cmp_lt_i32 s15, 21
	s_mov_b64 s[8:9], 0
	s_cbranch_scc1 .LBB13_618
; %bb.616:
	s_cmp_eq_u32 s15, 21
	s_cbranch_scc0 .LBB13_619
; %bb.617:
	s_add_i32 s10, s2, 1
	s_mul_i32 s10, s10, s14
	v_add_u32_e32 v4, s10, v0
	v_mov_b32_e32 v5, 0
	v_lshl_add_u64 v[4:5], v[4:5], 2, s[4:5]
	global_load_dword v3, v[4:5], off
	s_mov_b64 s[10:11], 0
	s_waitcnt vmcnt(0)
	v_alignbit_b32 v3, v3, v2, 31
	v_and_b32_e32 v29, 7, v3
	s_branch .LBB13_620
.LBB13_618:
                                        ; implicit-def: $vgpr29
	s_mov_b64 s[10:11], 0
	s_cbranch_execnz .LBB13_621
	s_branch .LBB13_622
.LBB13_619:
	s_mov_b64 s[10:11], -1
                                        ; implicit-def: $vgpr29
.LBB13_620:
	s_branch .LBB13_622
.LBB13_621:
	s_cmp_lg_u32 s15, 10
	s_mov_b64 s[8:9], -1
	s_cselect_b64 s[10:11], -1, 0
.LBB13_622:
	s_andn2_b64 vcc, exec, s[10:11]
	s_cbranch_vccz .LBB13_628
; %bb.623:
	s_andn2_b64 vcc, exec, s[8:9]
	s_cbranch_vccnz .LBB13_625
.LBB13_624:
	s_add_i32 s2, s2, 1
	s_mul_i32 s2, s2, s14
	v_add_u32_e32 v4, s2, v0
	v_mov_b32_e32 v5, 0
	v_lshl_add_u64 v[4:5], v[4:5], 2, s[4:5]
	global_load_dword v3, v[4:5], off
	s_waitcnt vmcnt(0)
	v_alignbit_b32 v2, v3, v2, 30
	v_and_b32_e32 v29, 7, v2
.LBB13_625:
	s_load_dword s2, s[0:1], 0x64
	s_waitcnt lgkmcnt(0)
	s_ashr_i32 s8, s2, 31
	s_lshr_b32 s8, s8, 27
	s_add_i32 s8, s2, s8
	s_ashr_i32 s12, s8, 5
	s_andn2_b32 s8, s8, 31
	s_sub_i32 s15, s2, s8
	s_cmp_lt_i32 s15, 21
	s_mul_i32 s12, s12, 3
	s_cbranch_scc1 .LBB13_629
; %bb.626:
	s_cmp_eq_u32 s15, 21
	s_cbranch_scc0 .LBB13_630
; %bb.627:
	s_add_i32 s2, s12, 1
	s_mov_b64 s[8:9], 0
	s_branch .LBB13_631
.LBB13_628:
	v_mov_b32_e32 v3, 0
	s_waitcnt vmcnt(0)
	v_lshrrev_b64 v[4:5], s16, v[2:3]
	v_and_b32_e32 v29, 7, v4
	s_cbranch_execz .LBB13_624
	s_branch .LBB13_625
.LBB13_629:
	s_mov_b64 s[8:9], 0
                                        ; implicit-def: $sgpr2
	s_cbranch_execnz .LBB13_632
	s_branch .LBB13_633
.LBB13_630:
	s_mov_b64 s[8:9], -1
                                        ; implicit-def: $sgpr2
.LBB13_631:
	s_branch .LBB13_633
.LBB13_632:
	s_cmp_lg_u32 s15, 10
	s_cselect_b64 s[8:9], -1, 0
	s_mov_b32 s2, s12
.LBB13_633:
	s_andn2_b64 vcc, exec, s[8:9]
	s_mov_b32 s16, 8
	s_cbranch_vccnz .LBB13_640
; %bb.634:
	s_cmp_gt_i32 s15, 21
	s_mul_i32 s10, s15, 3
	s_cbranch_scc1 .LBB13_638
; %bb.635:
	s_cmp_lt_i32 s15, 11
	s_mov_b32 s16, s10
	s_mov_b32 s2, s12
	s_cbranch_scc1 .LBB13_637
; %bb.636:
	s_sub_i32 s16, s10, 32
	s_add_i32 s2, s12, 1
.LBB13_637:
	s_cbranch_execz .LBB13_639
	s_branch .LBB13_640
.LBB13_638:
                                        ; implicit-def: $sgpr16
                                        ; implicit-def: $sgpr2
.LBB13_639:
	s_sub_i32 s16, s10, 64
	s_add_i32 s2, s12, 2
.LBB13_640:
	s_mul_i32 s8, s2, s14
	s_waitcnt vmcnt(0)
	v_add_u32_e32 v2, s8, v0
	v_mov_b32_e32 v3, 0
	v_lshl_add_u64 v[2:3], v[2:3], 2, s[4:5]
	global_load_dword v2, v[2:3], off
	s_cmp_lt_i32 s15, 21
	s_mov_b64 s[8:9], 0
	s_cbranch_scc1 .LBB13_643
; %bb.641:
	s_cmp_eq_u32 s15, 21
	s_cbranch_scc0 .LBB13_644
; %bb.642:
	s_add_i32 s10, s2, 1
	s_mul_i32 s10, s10, s14
	v_add_u32_e32 v4, s10, v0
	v_mov_b32_e32 v5, 0
	v_lshl_add_u64 v[4:5], v[4:5], 2, s[4:5]
	global_load_dword v3, v[4:5], off
	s_mov_b64 s[10:11], 0
	s_waitcnt vmcnt(0)
	v_alignbit_b32 v3, v3, v2, 31
	v_and_b32_e32 v30, 7, v3
	s_branch .LBB13_645
.LBB13_643:
                                        ; implicit-def: $vgpr30
	s_mov_b64 s[10:11], 0
	s_cbranch_execnz .LBB13_646
	s_branch .LBB13_647
.LBB13_644:
	s_mov_b64 s[10:11], -1
                                        ; implicit-def: $vgpr30
.LBB13_645:
	s_branch .LBB13_647
.LBB13_646:
	s_cmp_lg_u32 s15, 10
	s_mov_b64 s[8:9], -1
	s_cselect_b64 s[10:11], -1, 0
.LBB13_647:
	s_andn2_b64 vcc, exec, s[10:11]
	s_cbranch_vccz .LBB13_653
; %bb.648:
	s_andn2_b64 vcc, exec, s[8:9]
	s_cbranch_vccnz .LBB13_650
.LBB13_649:
	s_add_i32 s2, s2, 1
	s_mul_i32 s2, s2, s14
	v_add_u32_e32 v4, s2, v0
	v_mov_b32_e32 v5, 0
	v_lshl_add_u64 v[4:5], v[4:5], 2, s[4:5]
	global_load_dword v3, v[4:5], off
	s_waitcnt vmcnt(0)
	v_alignbit_b32 v2, v3, v2, 30
	v_and_b32_e32 v30, 7, v2
.LBB13_650:
	s_load_dword s2, s[0:1], 0x68
	s_waitcnt lgkmcnt(0)
	s_ashr_i32 s8, s2, 31
	s_lshr_b32 s8, s8, 27
	s_add_i32 s8, s2, s8
	s_ashr_i32 s12, s8, 5
	s_andn2_b32 s8, s8, 31
	s_sub_i32 s15, s2, s8
	s_cmp_lt_i32 s15, 21
	s_mul_i32 s12, s12, 3
	s_cbranch_scc1 .LBB13_654
; %bb.651:
	s_cmp_eq_u32 s15, 21
	s_cbranch_scc0 .LBB13_655
; %bb.652:
	s_add_i32 s2, s12, 1
	s_mov_b64 s[8:9], 0
	s_branch .LBB13_656
.LBB13_653:
	v_mov_b32_e32 v3, 0
	s_waitcnt vmcnt(0)
	v_lshrrev_b64 v[4:5], s16, v[2:3]
	v_and_b32_e32 v30, 7, v4
	s_cbranch_execz .LBB13_649
	s_branch .LBB13_650
.LBB13_654:
	s_mov_b64 s[8:9], 0
                                        ; implicit-def: $sgpr2
	s_cbranch_execnz .LBB13_657
	s_branch .LBB13_658
.LBB13_655:
	s_mov_b64 s[8:9], -1
                                        ; implicit-def: $sgpr2
.LBB13_656:
	s_branch .LBB13_658
.LBB13_657:
	s_cmp_lg_u32 s15, 10
	s_cselect_b64 s[8:9], -1, 0
	s_mov_b32 s2, s12
.LBB13_658:
	s_andn2_b64 vcc, exec, s[8:9]
	s_mov_b32 s16, 11
	s_cbranch_vccnz .LBB13_665
; %bb.659:
	s_cmp_gt_i32 s15, 21
	s_mul_i32 s10, s15, 3
	s_cbranch_scc1 .LBB13_663
; %bb.660:
	s_cmp_lt_i32 s15, 11
	s_mov_b32 s16, s10
	s_mov_b32 s2, s12
	s_cbranch_scc1 .LBB13_662
; %bb.661:
	s_sub_i32 s16, s10, 32
	s_add_i32 s2, s12, 1
.LBB13_662:
	s_cbranch_execz .LBB13_664
	s_branch .LBB13_665
.LBB13_663:
                                        ; implicit-def: $sgpr16
                                        ; implicit-def: $sgpr2
.LBB13_664:
	s_sub_i32 s16, s10, 64
	s_add_i32 s2, s12, 2
.LBB13_665:
	s_mul_i32 s8, s2, s14
	s_waitcnt vmcnt(0)
	v_add_u32_e32 v2, s8, v0
	v_mov_b32_e32 v3, 0
	v_lshl_add_u64 v[2:3], v[2:3], 2, s[4:5]
	global_load_dword v2, v[2:3], off
	s_cmp_lt_i32 s15, 21
	s_mov_b64 s[8:9], 0
	s_cbranch_scc1 .LBB13_668
; %bb.666:
	s_cmp_eq_u32 s15, 21
	s_cbranch_scc0 .LBB13_669
; %bb.667:
	s_add_i32 s10, s2, 1
	s_mul_i32 s10, s10, s14
	v_add_u32_e32 v4, s10, v0
	v_mov_b32_e32 v5, 0
	v_lshl_add_u64 v[4:5], v[4:5], 2, s[4:5]
	global_load_dword v3, v[4:5], off
	s_mov_b64 s[10:11], 0
	s_waitcnt vmcnt(0)
	v_alignbit_b32 v3, v3, v2, 31
	v_and_b32_e32 v31, 7, v3
	s_branch .LBB13_670
.LBB13_668:
                                        ; implicit-def: $vgpr31
	s_mov_b64 s[10:11], 0
	s_cbranch_execnz .LBB13_671
	s_branch .LBB13_672
.LBB13_669:
	s_mov_b64 s[10:11], -1
                                        ; implicit-def: $vgpr31
.LBB13_670:
	s_branch .LBB13_672
.LBB13_671:
	s_cmp_lg_u32 s15, 10
	s_mov_b64 s[8:9], -1
	s_cselect_b64 s[10:11], -1, 0
.LBB13_672:
	s_andn2_b64 vcc, exec, s[10:11]
	s_cbranch_vccz .LBB13_678
; %bb.673:
	s_andn2_b64 vcc, exec, s[8:9]
	s_cbranch_vccnz .LBB13_675
.LBB13_674:
	s_add_i32 s2, s2, 1
	s_mul_i32 s2, s2, s14
	v_add_u32_e32 v4, s2, v0
	v_mov_b32_e32 v5, 0
	v_lshl_add_u64 v[4:5], v[4:5], 2, s[4:5]
	global_load_dword v3, v[4:5], off
	s_waitcnt vmcnt(0)
	v_alignbit_b32 v2, v3, v2, 30
	v_and_b32_e32 v31, 7, v2
.LBB13_675:
	s_load_dword s2, s[0:1], 0x6c
	s_waitcnt lgkmcnt(0)
	s_ashr_i32 s8, s2, 31
	s_lshr_b32 s8, s8, 27
	s_add_i32 s8, s2, s8
	s_ashr_i32 s12, s8, 5
	s_andn2_b32 s8, s8, 31
	s_sub_i32 s15, s2, s8
	s_cmp_lt_i32 s15, 21
	s_mul_i32 s12, s12, 3
	s_cbranch_scc1 .LBB13_679
; %bb.676:
	s_cmp_eq_u32 s15, 21
	s_cbranch_scc0 .LBB13_680
; %bb.677:
	s_add_i32 s2, s12, 1
	s_mov_b64 s[8:9], 0
	s_branch .LBB13_681
.LBB13_678:
	v_mov_b32_e32 v3, 0
	s_waitcnt vmcnt(0)
	v_lshrrev_b64 v[4:5], s16, v[2:3]
	v_and_b32_e32 v31, 7, v4
	s_cbranch_execz .LBB13_674
	s_branch .LBB13_675
.LBB13_679:
	s_mov_b64 s[8:9], 0
                                        ; implicit-def: $sgpr2
	s_cbranch_execnz .LBB13_682
	s_branch .LBB13_683
.LBB13_680:
	s_mov_b64 s[8:9], -1
                                        ; implicit-def: $sgpr2
.LBB13_681:
	s_branch .LBB13_683
.LBB13_682:
	s_cmp_lg_u32 s15, 10
	s_cselect_b64 s[8:9], -1, 0
	s_mov_b32 s2, s12
.LBB13_683:
	s_andn2_b64 vcc, exec, s[8:9]
	s_mov_b32 s16, 14
	s_cbranch_vccnz .LBB13_690
; %bb.684:
	s_cmp_gt_i32 s15, 21
	s_mul_i32 s10, s15, 3
	s_cbranch_scc1 .LBB13_688
; %bb.685:
	s_cmp_lt_i32 s15, 11
	s_mov_b32 s16, s10
	s_mov_b32 s2, s12
	s_cbranch_scc1 .LBB13_687
; %bb.686:
	s_sub_i32 s16, s10, 32
	s_add_i32 s2, s12, 1
.LBB13_687:
	s_cbranch_execz .LBB13_689
	s_branch .LBB13_690
.LBB13_688:
                                        ; implicit-def: $sgpr16
                                        ; implicit-def: $sgpr2
.LBB13_689:
	s_sub_i32 s16, s10, 64
	s_add_i32 s2, s12, 2
.LBB13_690:
	s_mul_i32 s8, s2, s14
	s_waitcnt vmcnt(0)
	v_add_u32_e32 v2, s8, v0
	v_mov_b32_e32 v3, 0
	v_lshl_add_u64 v[2:3], v[2:3], 2, s[4:5]
	global_load_dword v2, v[2:3], off
	s_cmp_lt_i32 s15, 21
	s_mov_b64 s[8:9], 0
	s_cbranch_scc1 .LBB13_693
; %bb.691:
	s_cmp_eq_u32 s15, 21
	s_cbranch_scc0 .LBB13_694
; %bb.692:
	s_add_i32 s10, s2, 1
	s_mul_i32 s10, s10, s14
	v_add_u32_e32 v4, s10, v0
	v_mov_b32_e32 v5, 0
	v_lshl_add_u64 v[4:5], v[4:5], 2, s[4:5]
	global_load_dword v3, v[4:5], off
	s_mov_b64 s[10:11], 0
	s_waitcnt vmcnt(0)
	v_alignbit_b32 v3, v3, v2, 31
	v_and_b32_e32 v32, 7, v3
	s_branch .LBB13_695
.LBB13_693:
                                        ; implicit-def: $vgpr32
	s_mov_b64 s[10:11], 0
	s_cbranch_execnz .LBB13_696
	s_branch .LBB13_697
.LBB13_694:
	s_mov_b64 s[10:11], -1
                                        ; implicit-def: $vgpr32
.LBB13_695:
	s_branch .LBB13_697
.LBB13_696:
	s_cmp_lg_u32 s15, 10
	s_mov_b64 s[8:9], -1
	s_cselect_b64 s[10:11], -1, 0
.LBB13_697:
	s_andn2_b64 vcc, exec, s[10:11]
	s_cbranch_vccz .LBB13_703
; %bb.698:
	s_andn2_b64 vcc, exec, s[8:9]
	s_cbranch_vccnz .LBB13_700
.LBB13_699:
	s_add_i32 s2, s2, 1
	s_mul_i32 s2, s2, s14
	v_add_u32_e32 v4, s2, v0
	v_mov_b32_e32 v5, 0
	v_lshl_add_u64 v[4:5], v[4:5], 2, s[4:5]
	global_load_dword v3, v[4:5], off
	s_waitcnt vmcnt(0)
	v_alignbit_b32 v2, v3, v2, 30
	v_and_b32_e32 v32, 7, v2
.LBB13_700:
	s_load_dword s2, s[0:1], 0x70
	s_waitcnt lgkmcnt(0)
	s_ashr_i32 s8, s2, 31
	s_lshr_b32 s8, s8, 27
	s_add_i32 s8, s2, s8
	s_ashr_i32 s12, s8, 5
	s_andn2_b32 s8, s8, 31
	s_sub_i32 s15, s2, s8
	s_cmp_lt_i32 s15, 21
	s_mul_i32 s12, s12, 3
	s_cbranch_scc1 .LBB13_704
; %bb.701:
	s_cmp_eq_u32 s15, 21
	s_cbranch_scc0 .LBB13_705
; %bb.702:
	s_add_i32 s2, s12, 1
	s_mov_b64 s[8:9], 0
	s_branch .LBB13_706
.LBB13_703:
	v_mov_b32_e32 v3, 0
	s_waitcnt vmcnt(0)
	v_lshrrev_b64 v[4:5], s16, v[2:3]
	v_and_b32_e32 v32, 7, v4
	s_cbranch_execz .LBB13_699
	s_branch .LBB13_700
.LBB13_704:
	s_mov_b64 s[8:9], 0
                                        ; implicit-def: $sgpr2
	s_cbranch_execnz .LBB13_707
	s_branch .LBB13_708
.LBB13_705:
	s_mov_b64 s[8:9], -1
                                        ; implicit-def: $sgpr2
.LBB13_706:
	s_branch .LBB13_708
.LBB13_707:
	s_cmp_lg_u32 s15, 10
	s_cselect_b64 s[8:9], -1, 0
	s_mov_b32 s2, s12
.LBB13_708:
	s_andn2_b64 vcc, exec, s[8:9]
	s_mov_b32 s16, 17
	s_cbranch_vccnz .LBB13_715
; %bb.709:
	s_cmp_gt_i32 s15, 21
	s_mul_i32 s10, s15, 3
	s_cbranch_scc1 .LBB13_713
; %bb.710:
	s_cmp_lt_i32 s15, 11
	s_mov_b32 s16, s10
	s_mov_b32 s2, s12
	s_cbranch_scc1 .LBB13_712
; %bb.711:
	s_sub_i32 s16, s10, 32
	s_add_i32 s2, s12, 1
.LBB13_712:
	s_cbranch_execz .LBB13_714
	s_branch .LBB13_715
.LBB13_713:
                                        ; implicit-def: $sgpr16
                                        ; implicit-def: $sgpr2
.LBB13_714:
	s_sub_i32 s16, s10, 64
	s_add_i32 s2, s12, 2
.LBB13_715:
	s_mul_i32 s8, s2, s14
	s_waitcnt vmcnt(0)
	v_add_u32_e32 v2, s8, v0
	v_mov_b32_e32 v3, 0
	v_lshl_add_u64 v[2:3], v[2:3], 2, s[4:5]
	global_load_dword v2, v[2:3], off
	s_cmp_lt_i32 s15, 21
	s_mov_b64 s[8:9], 0
	s_cbranch_scc1 .LBB13_718
; %bb.716:
	s_cmp_eq_u32 s15, 21
	s_cbranch_scc0 .LBB13_719
; %bb.717:
	s_add_i32 s10, s2, 1
	s_mul_i32 s10, s10, s14
	v_add_u32_e32 v4, s10, v0
	v_mov_b32_e32 v5, 0
	v_lshl_add_u64 v[4:5], v[4:5], 2, s[4:5]
	global_load_dword v3, v[4:5], off
	s_mov_b64 s[10:11], 0
	s_waitcnt vmcnt(0)
	v_alignbit_b32 v3, v3, v2, 31
	v_and_b32_e32 v33, 7, v3
	s_branch .LBB13_720
.LBB13_718:
                                        ; implicit-def: $vgpr33
	s_mov_b64 s[10:11], 0
	s_cbranch_execnz .LBB13_721
	s_branch .LBB13_722
.LBB13_719:
	s_mov_b64 s[10:11], -1
                                        ; implicit-def: $vgpr33
.LBB13_720:
	s_branch .LBB13_722
.LBB13_721:
	s_cmp_lg_u32 s15, 10
	s_mov_b64 s[8:9], -1
	s_cselect_b64 s[10:11], -1, 0
.LBB13_722:
	s_andn2_b64 vcc, exec, s[10:11]
	s_cbranch_vccz .LBB13_728
; %bb.723:
	s_andn2_b64 vcc, exec, s[8:9]
	s_cbranch_vccnz .LBB13_725
.LBB13_724:
	s_add_i32 s2, s2, 1
	s_mul_i32 s2, s2, s14
	v_add_u32_e32 v4, s2, v0
	v_mov_b32_e32 v5, 0
	v_lshl_add_u64 v[4:5], v[4:5], 2, s[4:5]
	global_load_dword v3, v[4:5], off
	s_waitcnt vmcnt(0)
	v_alignbit_b32 v2, v3, v2, 30
	v_and_b32_e32 v33, 7, v2
.LBB13_725:
	s_load_dword s2, s[0:1], 0x74
	s_waitcnt lgkmcnt(0)
	s_ashr_i32 s8, s2, 31
	s_lshr_b32 s8, s8, 27
	s_add_i32 s8, s2, s8
	s_ashr_i32 s12, s8, 5
	s_andn2_b32 s8, s8, 31
	s_sub_i32 s15, s2, s8
	s_cmp_lt_i32 s15, 21
	s_mul_i32 s12, s12, 3
	s_cbranch_scc1 .LBB13_729
; %bb.726:
	s_cmp_eq_u32 s15, 21
	s_cbranch_scc0 .LBB13_730
; %bb.727:
	s_add_i32 s2, s12, 1
	s_mov_b64 s[8:9], 0
	s_branch .LBB13_731
.LBB13_728:
	v_mov_b32_e32 v3, 0
	s_waitcnt vmcnt(0)
	v_lshrrev_b64 v[4:5], s16, v[2:3]
	v_and_b32_e32 v33, 7, v4
	s_cbranch_execz .LBB13_724
	s_branch .LBB13_725
.LBB13_729:
	s_mov_b64 s[8:9], 0
                                        ; implicit-def: $sgpr2
	s_cbranch_execnz .LBB13_732
	s_branch .LBB13_733
.LBB13_730:
	s_mov_b64 s[8:9], -1
                                        ; implicit-def: $sgpr2
.LBB13_731:
	s_branch .LBB13_733
.LBB13_732:
	s_cmp_lg_u32 s15, 10
	s_cselect_b64 s[8:9], -1, 0
	s_mov_b32 s2, s12
.LBB13_733:
	s_andn2_b64 vcc, exec, s[8:9]
	s_mov_b32 s16, 20
	s_cbranch_vccnz .LBB13_740
; %bb.734:
	s_cmp_gt_i32 s15, 21
	s_mul_i32 s10, s15, 3
	s_cbranch_scc1 .LBB13_738
; %bb.735:
	s_cmp_lt_i32 s15, 11
	s_mov_b32 s16, s10
	s_mov_b32 s2, s12
	s_cbranch_scc1 .LBB13_737
; %bb.736:
	s_sub_i32 s16, s10, 32
	s_add_i32 s2, s12, 1
.LBB13_737:
	s_cbranch_execz .LBB13_739
	s_branch .LBB13_740
.LBB13_738:
                                        ; implicit-def: $sgpr16
                                        ; implicit-def: $sgpr2
.LBB13_739:
	s_sub_i32 s16, s10, 64
	s_add_i32 s2, s12, 2
.LBB13_740:
	s_mul_i32 s8, s2, s14
	s_waitcnt vmcnt(0)
	v_add_u32_e32 v2, s8, v0
	v_mov_b32_e32 v3, 0
	v_lshl_add_u64 v[2:3], v[2:3], 2, s[4:5]
	global_load_dword v2, v[2:3], off
	s_cmp_lt_i32 s15, 21
	s_mov_b64 s[8:9], 0
	s_cbranch_scc1 .LBB13_743
; %bb.741:
	s_cmp_eq_u32 s15, 21
	s_cbranch_scc0 .LBB13_744
; %bb.742:
	s_add_i32 s10, s2, 1
	s_mul_i32 s10, s10, s14
	v_add_u32_e32 v4, s10, v0
	v_mov_b32_e32 v5, 0
	v_lshl_add_u64 v[4:5], v[4:5], 2, s[4:5]
	global_load_dword v3, v[4:5], off
	s_mov_b64 s[10:11], 0
	s_waitcnt vmcnt(0)
	v_alignbit_b32 v3, v3, v2, 31
	v_and_b32_e32 v34, 7, v3
	s_branch .LBB13_745
.LBB13_743:
                                        ; implicit-def: $vgpr34
	s_mov_b64 s[10:11], 0
	s_cbranch_execnz .LBB13_746
	s_branch .LBB13_747
.LBB13_744:
	s_mov_b64 s[10:11], -1
                                        ; implicit-def: $vgpr34
.LBB13_745:
	s_branch .LBB13_747
.LBB13_746:
	s_cmp_lg_u32 s15, 10
	s_mov_b64 s[8:9], -1
	s_cselect_b64 s[10:11], -1, 0
.LBB13_747:
	s_andn2_b64 vcc, exec, s[10:11]
	s_cbranch_vccz .LBB13_753
; %bb.748:
	s_andn2_b64 vcc, exec, s[8:9]
	s_cbranch_vccnz .LBB13_750
.LBB13_749:
	s_add_i32 s2, s2, 1
	s_mul_i32 s2, s2, s14
	v_add_u32_e32 v4, s2, v0
	v_mov_b32_e32 v5, 0
	v_lshl_add_u64 v[4:5], v[4:5], 2, s[4:5]
	global_load_dword v3, v[4:5], off
	s_waitcnt vmcnt(0)
	v_alignbit_b32 v2, v3, v2, 30
	v_and_b32_e32 v34, 7, v2
.LBB13_750:
	s_load_dword s2, s[0:1], 0x78
	s_waitcnt lgkmcnt(0)
	s_ashr_i32 s8, s2, 31
	s_lshr_b32 s8, s8, 27
	s_add_i32 s8, s2, s8
	s_ashr_i32 s12, s8, 5
	s_andn2_b32 s8, s8, 31
	s_sub_i32 s15, s2, s8
	s_cmp_lt_i32 s15, 21
	s_mul_i32 s12, s12, 3
	s_cbranch_scc1 .LBB13_754
; %bb.751:
	s_cmp_eq_u32 s15, 21
	s_cbranch_scc0 .LBB13_755
; %bb.752:
	s_add_i32 s2, s12, 1
	s_mov_b64 s[8:9], 0
	s_branch .LBB13_756
.LBB13_753:
	v_mov_b32_e32 v3, 0
	s_waitcnt vmcnt(0)
	v_lshrrev_b64 v[4:5], s16, v[2:3]
	v_and_b32_e32 v34, 7, v4
	s_cbranch_execz .LBB13_749
	s_branch .LBB13_750
.LBB13_754:
	s_mov_b64 s[8:9], 0
                                        ; implicit-def: $sgpr2
	s_cbranch_execnz .LBB13_757
	s_branch .LBB13_758
.LBB13_755:
	s_mov_b64 s[8:9], -1
                                        ; implicit-def: $sgpr2
.LBB13_756:
	s_branch .LBB13_758
.LBB13_757:
	s_cmp_lg_u32 s15, 10
	s_cselect_b64 s[8:9], -1, 0
	s_mov_b32 s2, s12
.LBB13_758:
	s_andn2_b64 vcc, exec, s[8:9]
	s_mov_b32 s16, 23
	s_cbranch_vccnz .LBB13_765
; %bb.759:
	s_cmp_gt_i32 s15, 21
	s_mul_i32 s10, s15, 3
	s_cbranch_scc1 .LBB13_763
; %bb.760:
	s_cmp_lt_i32 s15, 11
	s_mov_b32 s16, s10
	s_mov_b32 s2, s12
	s_cbranch_scc1 .LBB13_762
; %bb.761:
	s_sub_i32 s16, s10, 32
	s_add_i32 s2, s12, 1
.LBB13_762:
	s_cbranch_execz .LBB13_764
	s_branch .LBB13_765
.LBB13_763:
                                        ; implicit-def: $sgpr16
                                        ; implicit-def: $sgpr2
.LBB13_764:
	s_sub_i32 s16, s10, 64
	s_add_i32 s2, s12, 2
.LBB13_765:
	s_mul_i32 s8, s2, s14
	s_waitcnt vmcnt(0)
	v_add_u32_e32 v2, s8, v0
	v_mov_b32_e32 v3, 0
	v_lshl_add_u64 v[2:3], v[2:3], 2, s[4:5]
	global_load_dword v2, v[2:3], off
	s_cmp_lt_i32 s15, 21
	s_mov_b64 s[8:9], 0
	s_cbranch_scc1 .LBB13_768
; %bb.766:
	s_cmp_eq_u32 s15, 21
	s_cbranch_scc0 .LBB13_769
; %bb.767:
	s_add_i32 s10, s2, 1
	s_mul_i32 s10, s10, s14
	v_add_u32_e32 v4, s10, v0
	v_mov_b32_e32 v5, 0
	v_lshl_add_u64 v[4:5], v[4:5], 2, s[4:5]
	global_load_dword v3, v[4:5], off
	s_mov_b64 s[10:11], 0
	s_waitcnt vmcnt(0)
	v_alignbit_b32 v3, v3, v2, 31
	v_and_b32_e32 v35, 7, v3
	s_branch .LBB13_770
.LBB13_768:
                                        ; implicit-def: $vgpr35
	s_mov_b64 s[10:11], 0
	s_cbranch_execnz .LBB13_771
	s_branch .LBB13_772
.LBB13_769:
	s_mov_b64 s[10:11], -1
                                        ; implicit-def: $vgpr35
.LBB13_770:
	s_branch .LBB13_772
.LBB13_771:
	s_cmp_lg_u32 s15, 10
	s_mov_b64 s[8:9], -1
	s_cselect_b64 s[10:11], -1, 0
.LBB13_772:
	s_andn2_b64 vcc, exec, s[10:11]
	s_cbranch_vccz .LBB13_778
; %bb.773:
	s_andn2_b64 vcc, exec, s[8:9]
	s_cbranch_vccnz .LBB13_775
.LBB13_774:
	s_add_i32 s2, s2, 1
	s_mul_i32 s2, s2, s14
	v_add_u32_e32 v4, s2, v0
	v_mov_b32_e32 v5, 0
	v_lshl_add_u64 v[4:5], v[4:5], 2, s[4:5]
	global_load_dword v3, v[4:5], off
	s_waitcnt vmcnt(0)
	v_alignbit_b32 v2, v3, v2, 30
	v_and_b32_e32 v35, 7, v2
.LBB13_775:
	s_load_dword s0, s[0:1], 0x7c
	s_waitcnt lgkmcnt(0)
	s_ashr_i32 s1, s0, 31
	s_lshr_b32 s1, s1, 27
	s_add_i32 s1, s0, s1
	s_ashr_i32 s10, s1, 5
	s_andn2_b32 s1, s1, 31
	s_sub_i32 s2, s0, s1
	s_cmp_lt_i32 s2, 21
	s_mul_i32 s10, s10, 3
	s_cbranch_scc1 .LBB13_779
; %bb.776:
	s_cmp_eq_u32 s2, 21
	s_cbranch_scc0 .LBB13_780
; %bb.777:
	s_add_i32 s11, s10, 1
	s_mov_b64 s[0:1], 0
	s_branch .LBB13_781
.LBB13_778:
	v_mov_b32_e32 v3, 0
	s_waitcnt vmcnt(0)
	v_lshrrev_b64 v[4:5], s16, v[2:3]
	v_and_b32_e32 v35, 7, v4
	s_cbranch_execz .LBB13_774
	s_branch .LBB13_775
.LBB13_779:
	s_mov_b64 s[0:1], 0
                                        ; implicit-def: $sgpr11
	s_cbranch_execnz .LBB13_782
	s_branch .LBB13_783
.LBB13_780:
	s_mov_b64 s[0:1], -1
                                        ; implicit-def: $sgpr11
.LBB13_781:
	s_branch .LBB13_783
.LBB13_782:
	s_cmp_lg_u32 s2, 10
	s_cselect_b64 s[0:1], -1, 0
	s_mov_b32 s11, s10
.LBB13_783:
	s_andn2_b64 vcc, exec, s[0:1]
	s_mov_b32 s12, 26
	s_cbranch_vccnz .LBB13_790
; %bb.784:
	s_cmp_gt_i32 s2, 21
	s_mul_i32 s8, s2, 3
	s_cbranch_scc1 .LBB13_788
; %bb.785:
	s_cmp_lt_i32 s2, 11
	s_mov_b32 s12, s8
	s_mov_b32 s11, s10
	s_cbranch_scc1 .LBB13_787
; %bb.786:
	s_sub_i32 s12, s8, 32
	s_add_i32 s11, s10, 1
.LBB13_787:
	s_cbranch_execz .LBB13_789
	s_branch .LBB13_790
.LBB13_788:
                                        ; implicit-def: $sgpr12
                                        ; implicit-def: $sgpr11
.LBB13_789:
	s_sub_i32 s12, s8, 64
	s_add_i32 s11, s10, 2
.LBB13_790:
	s_mul_i32 s0, s11, s14
	v_add_u32_e32 v4, s0, v0
	v_mov_b32_e32 v5, 0
	s_waitcnt vmcnt(0)
	v_lshl_add_u64 v[2:3], v[4:5], 2, s[4:5]
	global_load_dword v2, v[2:3], off
	s_cmp_lt_i32 s2, 21
	s_mov_b64 s[0:1], 0
	s_cbranch_scc1 .LBB13_793
; %bb.791:
	s_cmp_eq_u32 s2, 21
	s_cbranch_scc0 .LBB13_794
; %bb.792:
	v_add_u32_e32 v36, s14, v4
	v_mov_b32_e32 v37, 0
	v_lshl_add_u64 v[36:37], v[36:37], 2, s[4:5]
	global_load_dword v3, v[36:37], off
	s_mov_b64 s[8:9], 0
	s_waitcnt vmcnt(0)
	v_alignbit_b32 v3, v3, v2, 31
	v_and_b32_e32 v3, 7, v3
	s_branch .LBB13_795
.LBB13_793:
                                        ; implicit-def: $vgpr3
	s_mov_b64 s[8:9], 0
	s_cbranch_execnz .LBB13_796
	s_branch .LBB13_797
.LBB13_794:
	s_mov_b64 s[8:9], -1
                                        ; implicit-def: $vgpr3
.LBB13_795:
	s_branch .LBB13_797
.LBB13_796:
	s_cmp_lg_u32 s2, 10
	s_mov_b64 s[0:1], -1
	s_cselect_b64 s[8:9], -1, 0
.LBB13_797:
	s_andn2_b64 vcc, exec, s[8:9]
	s_cbranch_vccz .LBB13_802
; %bb.798:
	s_andn2_b64 vcc, exec, s[0:1]
	s_cbranch_vccnz .LBB13_800
.LBB13_799:
	v_add_u32_e32 v4, s14, v4
	v_mov_b32_e32 v5, 0
	v_lshl_add_u64 v[4:5], v[4:5], 2, s[4:5]
	global_load_dword v3, v[4:5], off
	s_waitcnt vmcnt(0)
	v_alignbit_b32 v2, v3, v2, 30
	v_and_b32_e32 v3, 7, v2
.LBB13_800:
	s_waitcnt vmcnt(0)
	v_lshrrev_b32_e32 v2, 1, v26
	v_lshlrev_b32_e32 v4, 2, v27
	v_lshlrev_b32_e32 v5, 5, v28
	;; [unrolled: 1-line block ×4, first 2 shown]
	v_or3_b32 v2, v2, v4, v5
	v_lshlrev_b32_e32 v4, 8, v29
	v_lshlrev_b32_e32 v5, 11, v30
	v_or3_b32 v1, v1, v6, v7
	v_lshlrev_b32_e32 v6, 9, v8
	v_lshlrev_b32_e32 v7, 12, v9
	v_or3_b32 v2, v2, v4, v5
	v_lshlrev_b32_e32 v4, 14, v31
	v_lshlrev_b32_e32 v5, 17, v32
	v_or3_b32 v1, v1, v6, v7
	v_lshlrev_b32_e32 v6, 15, v10
	v_lshlrev_b32_e32 v7, 18, v11
	v_or3_b32 v2, v2, v4, v5
	v_lshlrev_b32_e32 v4, 20, v33
	v_lshlrev_b32_e32 v5, 23, v34
	v_or3_b32 v1, v1, v6, v7
	v_lshlrev_b32_e32 v6, 21, v12
	v_lshlrev_b32_e32 v7, 24, v13
	v_or3_b32 v2, v2, v4, v5
	v_lshrrev_b32_e32 v5, 2, v15
	v_or3_b32 v1, v1, v6, v7
	v_lshlrev_b32_e32 v6, 27, v14
	v_lshlrev_b32_e32 v7, 30, v15
	;; [unrolled: 1-line block ×3, first 2 shown]
	v_lshl_or_b32 v5, v16, 1, v5
	v_lshlrev_b32_e32 v16, 4, v17
	v_lshlrev_b32_e32 v17, 7, v18
	v_or3_b32 v6, v1, v6, v7
	v_lshlrev_b32_e32 v1, 29, v3
	s_mul_i32 s3, s3, s14
	v_or3_b32 v5, v5, v16, v17
	v_lshlrev_b32_e32 v16, 10, v19
	v_lshlrev_b32_e32 v17, 13, v20
	v_or3_b32 v4, v2, v4, v1
	v_mad_u64_u32 v[0:1], s[0:1], s3, 3, v[0:1]
	v_or3_b32 v5, v5, v16, v17
	v_lshlrev_b32_e32 v16, 16, v21
	v_lshlrev_b32_e32 v17, 19, v22
	v_mov_b32_e32 v1, 0
	v_or3_b32 v5, v5, v16, v17
	v_lshlrev_b32_e32 v16, 22, v23
	v_lshlrev_b32_e32 v17, 25, v24
	v_lshl_add_u64 v[2:3], v[0:1], 2, s[6:7]
	v_add_u32_e32 v0, s14, v0
	v_or3_b32 v5, v5, v16, v17
	v_lshlrev_b32_e32 v16, 28, v25
	v_lshlrev_b32_e32 v17, 31, v26
	global_store_dword v[2:3], v6, off
	v_lshl_add_u64 v[2:3], v[0:1], 2, s[6:7]
	v_add_u32_e32 v0, s14, v0
	v_or3_b32 v5, v5, v16, v17
	v_lshl_add_u64 v[0:1], v[0:1], 2, s[6:7]
	global_store_dword v[2:3], v5, off
	global_store_dword v[0:1], v4, off
.LBB13_801:
	s_endpgm
.LBB13_802:
	v_mov_b32_e32 v3, 0
	s_waitcnt vmcnt(0)
	v_lshrrev_b64 v[36:37], s12, v[2:3]
	v_and_b32_e32 v3, 7, v36
	s_cbranch_execz .LBB13_799
	s_branch .LBB13_800
	.section	.rodata,"a",@progbits
	.p2align	6, 0x0
	.amdhsa_kernel _ZN4vllm4gptq27make_sequential_3bit_kernelEPKjPjPKii
		.amdhsa_group_segment_fixed_size 0
		.amdhsa_private_segment_fixed_size 0
		.amdhsa_kernarg_size 28
		.amdhsa_user_sgpr_count 2
		.amdhsa_user_sgpr_dispatch_ptr 0
		.amdhsa_user_sgpr_queue_ptr 0
		.amdhsa_user_sgpr_kernarg_segment_ptr 1
		.amdhsa_user_sgpr_dispatch_id 0
		.amdhsa_user_sgpr_kernarg_preload_length 0
		.amdhsa_user_sgpr_kernarg_preload_offset 0
		.amdhsa_user_sgpr_private_segment_size 0
		.amdhsa_uses_dynamic_stack 0
		.amdhsa_enable_private_segment 0
		.amdhsa_system_sgpr_workgroup_id_x 1
		.amdhsa_system_sgpr_workgroup_id_y 1
		.amdhsa_system_sgpr_workgroup_id_z 0
		.amdhsa_system_sgpr_workgroup_info 0
		.amdhsa_system_vgpr_workitem_id 0
		.amdhsa_next_free_vgpr 38
		.amdhsa_next_free_sgpr 17
		.amdhsa_accum_offset 40
		.amdhsa_reserve_vcc 1
		.amdhsa_float_round_mode_32 0
		.amdhsa_float_round_mode_16_64 0
		.amdhsa_float_denorm_mode_32 3
		.amdhsa_float_denorm_mode_16_64 3
		.amdhsa_dx10_clamp 1
		.amdhsa_ieee_mode 1
		.amdhsa_fp16_overflow 0
		.amdhsa_tg_split 0
		.amdhsa_exception_fp_ieee_invalid_op 0
		.amdhsa_exception_fp_denorm_src 0
		.amdhsa_exception_fp_ieee_div_zero 0
		.amdhsa_exception_fp_ieee_overflow 0
		.amdhsa_exception_fp_ieee_underflow 0
		.amdhsa_exception_fp_ieee_inexact 0
		.amdhsa_exception_int_div_zero 0
	.end_amdhsa_kernel
	.text
.Lfunc_end13:
	.size	_ZN4vllm4gptq27make_sequential_3bit_kernelEPKjPjPKii, .Lfunc_end13-_ZN4vllm4gptq27make_sequential_3bit_kernelEPKjPjPKii
                                        ; -- End function
	.set _ZN4vllm4gptq27make_sequential_3bit_kernelEPKjPjPKii.num_vgpr, 38
	.set _ZN4vllm4gptq27make_sequential_3bit_kernelEPKjPjPKii.num_agpr, 0
	.set _ZN4vllm4gptq27make_sequential_3bit_kernelEPKjPjPKii.numbered_sgpr, 17
	.set _ZN4vllm4gptq27make_sequential_3bit_kernelEPKjPjPKii.num_named_barrier, 0
	.set _ZN4vllm4gptq27make_sequential_3bit_kernelEPKjPjPKii.private_seg_size, 0
	.set _ZN4vllm4gptq27make_sequential_3bit_kernelEPKjPjPKii.uses_vcc, 1
	.set _ZN4vllm4gptq27make_sequential_3bit_kernelEPKjPjPKii.uses_flat_scratch, 0
	.set _ZN4vllm4gptq27make_sequential_3bit_kernelEPKjPjPKii.has_dyn_sized_stack, 0
	.set _ZN4vllm4gptq27make_sequential_3bit_kernelEPKjPjPKii.has_recursion, 0
	.set _ZN4vllm4gptq27make_sequential_3bit_kernelEPKjPjPKii.has_indirect_call, 0
	.section	.AMDGPU.csdata,"",@progbits
; Kernel info:
; codeLenInByte = 13056
; TotalNumSgprs: 23
; NumVgprs: 38
; NumAgprs: 0
; TotalNumVgprs: 38
; ScratchSize: 0
; MemoryBound: 0
; FloatMode: 240
; IeeeMode: 1
; LDSByteSize: 0 bytes/workgroup (compile time only)
; SGPRBlocks: 2
; VGPRBlocks: 4
; NumSGPRsForWavesPerEU: 23
; NumVGPRsForWavesPerEU: 38
; AccumOffset: 40
; Occupancy: 8
; WaveLimiterHint : 0
; COMPUTE_PGM_RSRC2:SCRATCH_EN: 0
; COMPUTE_PGM_RSRC2:USER_SGPR: 2
; COMPUTE_PGM_RSRC2:TRAP_HANDLER: 0
; COMPUTE_PGM_RSRC2:TGID_X_EN: 1
; COMPUTE_PGM_RSRC2:TGID_Y_EN: 1
; COMPUTE_PGM_RSRC2:TGID_Z_EN: 0
; COMPUTE_PGM_RSRC2:TIDIG_COMP_CNT: 0
; COMPUTE_PGM_RSRC3_GFX90A:ACCUM_OFFSET: 9
; COMPUTE_PGM_RSRC3_GFX90A:TG_SPLIT: 0
	.text
	.protected	_ZN4vllm4gptq27make_sequential_8bit_kernelEPKjPjPKii ; -- Begin function _ZN4vllm4gptq27make_sequential_8bit_kernelEPKjPjPKii
	.globl	_ZN4vllm4gptq27make_sequential_8bit_kernelEPKjPjPKii
	.p2align	8
	.type	_ZN4vllm4gptq27make_sequential_8bit_kernelEPKjPjPKii,@function
_ZN4vllm4gptq27make_sequential_8bit_kernelEPKjPjPKii: ; @_ZN4vllm4gptq27make_sequential_8bit_kernelEPKjPjPKii
; %bb.0:
	s_load_dword s4, s[0:1], 0x18
	v_lshl_add_u32 v0, s2, 5, v0
	s_waitcnt lgkmcnt(0)
	s_ashr_i32 s12, s4, 1
	v_cmp_gt_u32_e32 vcc, s12, v0
	s_and_saveexec_b64 s[4:5], vcc
	s_cbranch_execz .LBB14_2
; %bb.1:
	s_load_dwordx2 s[4:5], s[0:1], 0x10
	s_lshl_b32 s6, s3, 2
	s_ashr_i32 s7, s6, 31
	s_lshl_b64 s[6:7], s[6:7], 2
	v_mov_b32_e32 v3, 0
	s_waitcnt lgkmcnt(0)
	s_add_u32 s14, s4, s6
	s_addc_u32 s15, s5, s7
	s_load_dwordx4 s[8:11], s[14:15], 0x0
	s_load_dwordx4 s[4:7], s[0:1], 0x0
	v_mov_b32_e32 v5, v3
	s_waitcnt lgkmcnt(0)
	s_ashr_i32 s1, s8, 2
	s_ashr_i32 s0, s9, 2
	s_mul_i32 s1, s1, s12
	s_mul_i32 s0, s0, s12
	v_add_u32_e32 v2, s1, v0
	s_ashr_i32 s1, s10, 2
	v_add_u32_e32 v4, s0, v0
	s_ashr_i32 s0, s11, 2
	s_mul_i32 s1, s1, s12
	v_lshl_add_u64 v[6:7], v[2:3], 3, s[4:5]
	v_lshl_add_u64 v[4:5], v[4:5], 3, s[4:5]
	s_mul_i32 s0, s0, s12
	v_add_u32_e32 v2, s1, v0
	global_load_dwordx2 v[8:9], v[6:7], off
	global_load_dwordx2 v[10:11], v[4:5], off
	v_add_u32_e32 v4, s0, v0
	v_lshl_add_u64 v[6:7], v[2:3], 3, s[4:5]
	v_mov_b32_e32 v5, v3
	v_lshl_add_u64 v[4:5], v[4:5], 3, s[4:5]
	global_load_dwordx2 v[12:13], v[6:7], off
	global_load_dwordx2 v[14:15], v[4:5], off
	s_lshl_b32 s1, s9, 3
	s_mul_i32 s12, s12, s3
	s_lshl_b32 s0, s8, 3
	s_lshl_b32 s2, s10, 3
	;; [unrolled: 1-line block ×3, first 2 shown]
	s_and_b32 s1, s1, 24
	s_and_b32 s0, s0, 24
	;; [unrolled: 1-line block ×4, first 2 shown]
	v_add_u32_e32 v2, s12, v0
	v_lshl_add_u64 v[2:3], v[2:3], 3, s[6:7]
	s_waitcnt vmcnt(3)
	v_lshrrev_b64 v[0:1], s0, v[8:9]
	s_waitcnt vmcnt(2)
	v_lshrrev_b64 v[4:5], s1, v[10:11]
	v_lshlrev_b64 v[4:5], 8, v[4:5]
	v_and_b32_e32 v10, 0xff00, v5
	v_and_b32_e32 v11, 0xff00, v4
	s_waitcnt vmcnt(1)
	v_lshrrev_b64 v[6:7], s2, v[12:13]
	s_waitcnt vmcnt(0)
	v_lshrrev_b64 v[8:9], s3, v[14:15]
	v_lshlrev_b64 v[4:5], 16, v[6:7]
	v_lshlrev_b64 v[6:7], 24, v[8:9]
	v_or_b32_sdwa v1, v10, v1 dst_sel:DWORD dst_unused:UNUSED_PAD src0_sel:DWORD src1_sel:BYTE_0
	v_or_b32_sdwa v0, v11, v0 dst_sel:DWORD dst_unused:UNUSED_PAD src0_sel:DWORD src1_sel:BYTE_0
	v_and_b32_e32 v5, 0xff0000, v5
	v_and_b32_e32 v4, 0xff0000, v4
	;; [unrolled: 1-line block ×3, first 2 shown]
	v_or3_b32 v1, v5, v1, v7
	v_or3_b32 v0, v4, v0, v6
	global_store_dwordx2 v[2:3], v[0:1], off
.LBB14_2:
	s_endpgm
	.section	.rodata,"a",@progbits
	.p2align	6, 0x0
	.amdhsa_kernel _ZN4vllm4gptq27make_sequential_8bit_kernelEPKjPjPKii
		.amdhsa_group_segment_fixed_size 0
		.amdhsa_private_segment_fixed_size 0
		.amdhsa_kernarg_size 28
		.amdhsa_user_sgpr_count 2
		.amdhsa_user_sgpr_dispatch_ptr 0
		.amdhsa_user_sgpr_queue_ptr 0
		.amdhsa_user_sgpr_kernarg_segment_ptr 1
		.amdhsa_user_sgpr_dispatch_id 0
		.amdhsa_user_sgpr_kernarg_preload_length 0
		.amdhsa_user_sgpr_kernarg_preload_offset 0
		.amdhsa_user_sgpr_private_segment_size 0
		.amdhsa_uses_dynamic_stack 0
		.amdhsa_enable_private_segment 0
		.amdhsa_system_sgpr_workgroup_id_x 1
		.amdhsa_system_sgpr_workgroup_id_y 1
		.amdhsa_system_sgpr_workgroup_id_z 0
		.amdhsa_system_sgpr_workgroup_info 0
		.amdhsa_system_vgpr_workitem_id 0
		.amdhsa_next_free_vgpr 16
		.amdhsa_next_free_sgpr 16
		.amdhsa_accum_offset 16
		.amdhsa_reserve_vcc 1
		.amdhsa_float_round_mode_32 0
		.amdhsa_float_round_mode_16_64 0
		.amdhsa_float_denorm_mode_32 3
		.amdhsa_float_denorm_mode_16_64 3
		.amdhsa_dx10_clamp 1
		.amdhsa_ieee_mode 1
		.amdhsa_fp16_overflow 0
		.amdhsa_tg_split 0
		.amdhsa_exception_fp_ieee_invalid_op 0
		.amdhsa_exception_fp_denorm_src 0
		.amdhsa_exception_fp_ieee_div_zero 0
		.amdhsa_exception_fp_ieee_overflow 0
		.amdhsa_exception_fp_ieee_underflow 0
		.amdhsa_exception_fp_ieee_inexact 0
		.amdhsa_exception_int_div_zero 0
	.end_amdhsa_kernel
	.text
.Lfunc_end14:
	.size	_ZN4vllm4gptq27make_sequential_8bit_kernelEPKjPjPKii, .Lfunc_end14-_ZN4vllm4gptq27make_sequential_8bit_kernelEPKjPjPKii
                                        ; -- End function
	.set _ZN4vllm4gptq27make_sequential_8bit_kernelEPKjPjPKii.num_vgpr, 16
	.set _ZN4vllm4gptq27make_sequential_8bit_kernelEPKjPjPKii.num_agpr, 0
	.set _ZN4vllm4gptq27make_sequential_8bit_kernelEPKjPjPKii.numbered_sgpr, 16
	.set _ZN4vllm4gptq27make_sequential_8bit_kernelEPKjPjPKii.num_named_barrier, 0
	.set _ZN4vllm4gptq27make_sequential_8bit_kernelEPKjPjPKii.private_seg_size, 0
	.set _ZN4vllm4gptq27make_sequential_8bit_kernelEPKjPjPKii.uses_vcc, 1
	.set _ZN4vllm4gptq27make_sequential_8bit_kernelEPKjPjPKii.uses_flat_scratch, 0
	.set _ZN4vllm4gptq27make_sequential_8bit_kernelEPKjPjPKii.has_dyn_sized_stack, 0
	.set _ZN4vllm4gptq27make_sequential_8bit_kernelEPKjPjPKii.has_recursion, 0
	.set _ZN4vllm4gptq27make_sequential_8bit_kernelEPKjPjPKii.has_indirect_call, 0
	.section	.AMDGPU.csdata,"",@progbits
; Kernel info:
; codeLenInByte = 416
; TotalNumSgprs: 22
; NumVgprs: 16
; NumAgprs: 0
; TotalNumVgprs: 16
; ScratchSize: 0
; MemoryBound: 0
; FloatMode: 240
; IeeeMode: 1
; LDSByteSize: 0 bytes/workgroup (compile time only)
; SGPRBlocks: 2
; VGPRBlocks: 1
; NumSGPRsForWavesPerEU: 22
; NumVGPRsForWavesPerEU: 16
; AccumOffset: 16
; Occupancy: 8
; WaveLimiterHint : 0
; COMPUTE_PGM_RSRC2:SCRATCH_EN: 0
; COMPUTE_PGM_RSRC2:USER_SGPR: 2
; COMPUTE_PGM_RSRC2:TRAP_HANDLER: 0
; COMPUTE_PGM_RSRC2:TGID_X_EN: 1
; COMPUTE_PGM_RSRC2:TGID_Y_EN: 1
; COMPUTE_PGM_RSRC2:TGID_Z_EN: 0
; COMPUTE_PGM_RSRC2:TIDIG_COMP_CNT: 0
; COMPUTE_PGM_RSRC3_GFX90A:ACCUM_OFFSET: 3
; COMPUTE_PGM_RSRC3_GFX90A:TG_SPLIT: 0
	.section	.text._ZN4vllm4gptq33gemm_half_q_half_gptq_2bit_kernelILb1ELi1EEEvPK6__halfPKjS6_S4_PS2_iiiibPKi,"axG",@progbits,_ZN4vllm4gptq33gemm_half_q_half_gptq_2bit_kernelILb1ELi1EEEvPK6__halfPKjS6_S4_PS2_iiiibPKi,comdat
	.protected	_ZN4vllm4gptq33gemm_half_q_half_gptq_2bit_kernelILb1ELi1EEEvPK6__halfPKjS6_S4_PS2_iiiibPKi ; -- Begin function _ZN4vllm4gptq33gemm_half_q_half_gptq_2bit_kernelILb1ELi1EEEvPK6__halfPKjS6_S4_PS2_iiiibPKi
	.globl	_ZN4vllm4gptq33gemm_half_q_half_gptq_2bit_kernelILb1ELi1EEEvPK6__halfPKjS6_S4_PS2_iiiibPKi
	.p2align	8
	.type	_ZN4vllm4gptq33gemm_half_q_half_gptq_2bit_kernelILb1ELi1EEEvPK6__halfPKjS6_S4_PS2_iiiibPKi,@function
_ZN4vllm4gptq33gemm_half_q_half_gptq_2bit_kernelILb1ELi1EEEvPK6__halfPKjS6_S4_PS2_iiiibPKi: ; @_ZN4vllm4gptq33gemm_half_q_half_gptq_2bit_kernelILb1ELi1EEEvPK6__halfPKjS6_S4_PS2_iiiibPKi
; %bb.0:
	s_load_dwordx4 s[16:19], s[0:1], 0x2c
	s_load_dwordx8 s[8:15], s[0:1], 0x8
	s_lshl_b32 s22, s4, 7
	s_add_i32 s4, s22, 0x80
	v_cvt_f64_u32_e32 v[2:3], s4
	s_waitcnt lgkmcnt(0)
	v_cvt_f64_i32_e32 v[4:5], s17
	v_min_f64 v[2:3], v[2:3], v[4:5]
	v_cvt_i32_f64_e32 v1, v[2:3]
	v_add_u32_e32 v2, s22, v0
	v_readfirstlane_b32 s23, v1
	v_cmp_lt_u32_e32 vcc, v2, v1
	s_and_saveexec_b64 s[4:5], vcc
	s_cbranch_execz .LBB15_4
; %bb.1:
	s_load_dwordx2 s[20:21], s[0:1], 0x40
	s_load_dwordx2 s[6:7], s[0:1], 0x0
	v_mov_b32_e32 v3, 0
	s_waitcnt lgkmcnt(0)
	s_cmp_eq_u64 s[20:21], 0
	s_cbranch_scc1 .LBB15_3
; %bb.2:
	v_lshl_add_u64 v[2:3], v[2:3], 2, s[20:21]
	global_load_dword v2, v[2:3], off
	s_waitcnt vmcnt(0)
	v_ashrrev_i32_e32 v3, 31, v2
.LBB15_3:
	s_mul_i32 s0, s17, s3
	s_ashr_i32 s1, s0, 31
	s_lshl_b64 s[0:1], s[0:1], 1
	s_add_u32 s0, s6, s0
	s_addc_u32 s1, s7, s1
	v_lshl_add_u64 v[2:3], v[2:3], 1, s[0:1]
	global_load_ushort v1, v[2:3], off
	v_lshlrev_b32_e32 v2, 1, v0
	s_waitcnt vmcnt(0)
	ds_write_b16 v2, v1
.LBB15_4:
	s_or_b64 exec, exec, s[4:5]
	v_lshlrev_b32_e32 v1, 2, v0
	v_lshl_add_u32 v4, s2, 9, v1
	v_cmp_gt_i32_e32 vcc, s16, v4
	s_and_saveexec_b64 s[0:1], vcc
	s_cbranch_execz .LBB15_16
; %bb.5:
	s_abs_i32 s0, s18
	v_cvt_f32_u32_e32 v1, s0
	s_cmp_ge_i32 s22, s23
	s_mov_b32 s2, 0
	s_waitcnt lgkmcnt(0)
	v_rcp_iflag_f32_e32 v1, v1
	s_barrier
	v_mul_f32_e32 v1, 0x4f7ffffe, v1
	v_cvt_u32_f32_e32 v1, v1
	s_nop 0
	v_readfirstlane_b32 s1, v1
	s_cbranch_scc1 .LBB15_10
; %bb.6:
	s_sub_i32 s7, 0, s0
	s_mul_i32 s7, s7, s1
	s_mul_hi_u32 s7, s1, s7
	s_abs_i32 s6, s17
	s_add_i32 s1, s1, s7
	s_ashr_i32 s4, s17, 31
	s_ashr_i32 s5, s18, 31
	s_mul_hi_u32 s1, s6, s1
	s_xor_b32 s4, s4, s5
	s_mul_i32 s5, s1, s0
	s_sub_i32 s5, s6, s5
	s_add_i32 s6, s1, 1
	s_sub_i32 s7, s5, s0
	s_cmp_ge_u32 s5, s0
	s_cselect_b32 s1, s6, s1
	s_cselect_b32 s5, s7, s5
	s_add_i32 s6, s1, 1
	s_cmp_ge_u32 s5, s0
	s_cselect_b32 s0, s6, s1
	s_xor_b32 s0, s0, s4
	s_sub_i32 s4, s0, s4
	v_cvt_f32_u32_e32 v1, s4
	s_bitcmp1_b32 s19, 0
	s_cselect_b64 s[0:1], -1, 0
	s_sub_i32 s5, 0, s4
	v_rcp_iflag_f32_e32 v1, v1
	s_xor_b64 s[0:1], s[0:1], -1
	v_ashrrev_i32_e32 v5, 31, v4
	v_lshrrev_b32_e32 v2, 28, v5
	v_mul_f32_e32 v1, 0x4f7ffffe, v1
	v_cvt_u32_f32_e32 v1, v1
	v_add_u32_e32 v2, v4, v2
	v_ashrrev_i32_e32 v10, 4, v2
	v_cndmask_b32_e64 v14, 0, 1, s[0:1]
	v_readfirstlane_b32 s6, v1
	s_mul_i32 s5, s5, s6
	s_mul_hi_u32 s5, s6, s5
	s_add_i32 s6, s6, s5
	s_mul_hi_u32 s5, s22, s6
	s_mul_i32 s6, s5, s4
	s_sub_i32 s6, s22, s6
	s_add_i32 s7, s5, 1
	s_sub_i32 s17, s6, s4
	s_cmp_ge_u32 s6, s4
	s_cselect_b32 s5, s7, s5
	s_cselect_b32 s6, s17, s6
	s_add_i32 s7, s5, 1
	s_cmp_ge_u32 s6, s4
	s_cselect_b32 s5, s7, s5
	s_mul_i32 s6, s5, s16
	s_ashr_i32 s7, s6, 31
	s_lshr_b32 s7, s7, 28
	s_add_i32 s7, s6, s7
	s_ashr_i32 s7, s7, 4
	v_add_u32_e32 v2, s7, v10
	v_ashrrev_i32_e32 v3, 31, v2
	v_lshl_add_u64 v[2:3], v[2:3], 2, s[10:11]
	global_load_dword v15, v[2:3], off
	v_add_u32_e32 v2, s6, v4
	v_ashrrev_i32_e32 v3, 31, v2
	v_lshl_add_u64 v[2:3], v[2:3], 1, s[12:13]
	global_load_dwordx2 v[6:7], v[2:3], off
	s_lshr_b32 s0, s22, 4
	s_mul_i32 s0, s16, s0
	s_ashr_i32 s1, s0, 31
	s_add_i32 s21, s4, s22
	s_ashr_i32 s17, s16, 31
	s_lshl_b64 s[0:1], s[0:1], 2
	s_add_u32 s8, s8, s0
	s_addc_u32 s9, s9, s1
	v_lshlrev_b32_e32 v2, 3, v0
	v_lshl_add_u64 v[0:1], v[4:5], 2, s[8:9]
	v_and_b32_e32 v13, 24, v2
	v_lshl_add_u64 v[8:9], v[0:1], 0, 8
	v_mov_b32_e32 v11, 0
	s_mov_b32 s6, 0x10001
	v_mov_b32_e32 v12, 0xe400e400
	s_movk_i32 s7, 0x3400
	s_movk_i32 s18, 0x2c00
	;; [unrolled: 1-line block ×3, first 2 shown]
	s_mov_b32 s20, 0x7060302
	s_lshl_b64 s[0:1], s[16:17], 2
	v_mov_b32_e32 v5, 0
	s_waitcnt vmcnt(1)
	v_lshrrev_b32_e32 v0, v2, v15
	v_bfe_u32 v15, v15, v13, 2
	v_bfe_u32 v16, v0, 2, 2
	;; [unrolled: 1-line block ×4, first 2 shown]
	s_branch .LBB15_8
.LBB15_7:                               ;   in Loop: Header=BB15_8 Depth=1
	global_load_dwordx4 v[0:3], v[8:9], off offset:-8
	v_add_u32_e32 v19, v15, v14
	v_add_u32_e32 v20, v16, v14
	v_cvt_f32_i32_e32 v23, v19
	v_cvt_f32_i32_e32 v24, v20
	v_add_u32_e32 v21, v17, v14
	v_cvt_f32_i32_e32 v25, v21
	v_cvt_f16_f32_e32 v23, v23
	v_cvt_f16_f32_e32 v24, v24
	v_add_u32_e32 v22, v18, v14
	v_and_b32_e32 v19, 0x1bff, v19
	v_cvt_f32_i32_e32 v26, v22
	v_cvt_f16_f32_e32 v25, v25
	v_sub_f16_e32 v27, 0xdc00, v23
	v_sub_f16_e32 v28, 0xd400, v23
	;; [unrolled: 1-line block ×3, first 2 shown]
	v_and_b32_e32 v20, 0x1bff, v20
	v_mad_u32_u24 v19, v19, s6, v12
	v_sub_f16_e32 v29, 0xdc00, v24
	v_sub_f16_e32 v30, 0xd400, v24
	;; [unrolled: 1-line block ×3, first 2 shown]
	v_mul_u32_u24_e32 v23, 0x10001, v23
	v_mad_u32_u24 v20, v20, s6, v12
	v_mul_u32_u24_e32 v27, 0x10001, v27
	v_mul_u32_u24_e32 v30, 0x10001, v30
	;; [unrolled: 1-line block ×5, first 2 shown]
	v_and_b32_e32 v21, 0x1bff, v21
	v_cvt_f16_f32_e32 v26, v26
	v_sub_f16_e32 v31, 0xdc00, v25
	v_sub_f16_e32 v32, 0xd400, v25
	;; [unrolled: 1-line block ×3, first 2 shown]
	v_mad_u32_u24 v21, v21, s6, v12
	v_mul_u32_u24_e32 v31, 0x10001, v31
	v_mul_u32_u24_e32 v32, 0x10001, v32
	;; [unrolled: 1-line block ×3, first 2 shown]
	v_and_b32_e32 v22, 0x1bff, v22
	v_mad_u32_u24 v22, v22, s6, v12
	v_sub_f16_e32 v33, 0xdc00, v26
	v_mul_u32_u24_e32 v33, 0x10001, v33
	v_sub_f16_e32 v34, 0xd400, v26
	v_sub_f16_e32 v26, 0xcc00, v26
	v_mul_u32_u24_e32 v34, 0x10001, v34
	v_mul_u32_u24_e32 v26, 0x10001, v26
	s_add_i32 s22, s22, 16
	v_lshl_add_u64 v[8:9], v[8:9], 0, s[0:1]
	s_waitcnt vmcnt(0)
	v_and_b32_e32 v35, 0x30003, v0
	v_and_b32_e32 v36, 0xc000c, v0
	;; [unrolled: 1-line block ×4, first 2 shown]
	v_lshrrev_b32_e32 v0, 8, v0
	v_and_b32_e32 v39, 0x30003, v1
	v_and_b32_e32 v40, 0xc000c, v1
	;; [unrolled: 1-line block ×4, first 2 shown]
	v_lshrrev_b32_e32 v1, 8, v1
	v_and_b32_e32 v43, 0x30003, v0
	v_and_b32_e32 v44, 0xc000c, v0
	;; [unrolled: 1-line block ×4, first 2 shown]
	v_or_b32_e32 v35, 0x64006400, v35
	v_and_b32_e32 v46, 0x30003, v1
	v_and_b32_e32 v47, 0xc000c, v1
	;; [unrolled: 1-line block ×3, first 2 shown]
	v_or_b32_e32 v43, 0x64006400, v43
	v_or_b32_e32 v0, 0x64006400, v0
	v_and_b32_e32 v1, 0xc000c0, v1
	v_or_b32_e32 v36, 0x64006400, v36
	v_or_b32_e32 v38, 0x64006400, v38
	;; [unrolled: 1-line block ×6, first 2 shown]
	v_pk_add_f16 v35, v19, v35
	v_or_b32_e32 v46, 0x64006400, v46
	v_pk_add_f16 v19, v19, v43
	v_pk_fma_f16 v43, v0, s19, v23 op_sel_hi:[1,0,1]
	v_or_b32_e32 v0, 0x64006400, v48
	v_or_b32_e32 v1, 0x64006400, v1
	;; [unrolled: 1-line block ×5, first 2 shown]
	v_pk_fma_f16 v36, v36, s7, v27 op_sel_hi:[1,0,1]
	v_pk_fma_f16 v38, v38, s19, v23 op_sel_hi:[1,0,1]
	v_or_b32_e32 v47, 0x64006400, v47
	v_pk_fma_f16 v27, v44, s7, v27 op_sel_hi:[1,0,1]
	v_pk_add_f16 v39, v20, v39
	v_pk_fma_f16 v41, v41, s18, v30 op_sel_hi:[1,0,1]
	v_pk_fma_f16 v42, v42, s19, v24 op_sel_hi:[1,0,1]
	v_pk_add_f16 v44, v20, v46
	v_pk_fma_f16 v30, v0, s18, v30 op_sel_hi:[1,0,1]
	v_pk_fma_f16 v24, v1, s19, v24 op_sel_hi:[1,0,1]
	v_and_b32_e32 v0, 0x30003, v2
	v_and_b32_e32 v1, 0xc000c, v2
	;; [unrolled: 1-line block ×4, first 2 shown]
	v_lshrrev_b32_e32 v2, 8, v2
	v_pk_fma_f16 v37, v37, s18, v28 op_sel_hi:[1,0,1]
	v_pk_fma_f16 v28, v45, s18, v28 op_sel_hi:[1,0,1]
	;; [unrolled: 1-line block ×4, first 2 shown]
	v_and_b32_e32 v45, 0x30003, v2
	v_and_b32_e32 v46, 0xc000c, v2
	;; [unrolled: 1-line block ×4, first 2 shown]
	v_or_b32_e32 v0, 0x64006400, v0
	v_or_b32_e32 v1, 0x64006400, v1
	;; [unrolled: 1-line block ×6, first 2 shown]
	v_pk_add_f16 v48, v21, v0
	v_pk_fma_f16 v49, v1, s7, v31 op_sel_hi:[1,0,1]
	v_pk_fma_f16 v50, v20, s18, v32 op_sel_hi:[1,0,1]
	;; [unrolled: 1-line block ×4, first 2 shown]
	v_and_b32_e32 v0, 0x30003, v3
	v_and_b32_e32 v1, 0xc000c, v3
	v_and_b32_e32 v2, 0x300030, v3
	v_and_b32_e32 v20, 0xc000c0, v3
	v_lshrrev_b32_e32 v3, 8, v3
	v_pk_add_f16 v45, v21, v45
	v_and_b32_e32 v21, 0x30003, v3
	v_or_b32_e32 v47, 0x64006400, v47
	v_or_b32_e32 v0, 0x64006400, v0
	v_or_b32_e32 v21, 0x64006400, v21
	v_pk_fma_f16 v32, v47, s18, v32 op_sel_hi:[1,0,1]
	v_or_b32_e32 v1, 0x64006400, v1
	v_pk_add_f16 v47, v22, v0
	v_pk_add_f16 v55, v22, v21
	v_mov_b32_e32 v22, s2
	v_pk_fma_f16 v52, v1, s7, v33 op_sel_hi:[1,0,1]
	ds_read2_b32 v[0:1], v22 offset1:1
	v_or_b32_e32 v46, 0x64006400, v46
	v_pk_fma_f16 v31, v46, s7, v31 op_sel_hi:[1,0,1]
	v_and_b32_e32 v23, 0xc000c, v3
	v_and_b32_e32 v46, 0x300030, v3
	;; [unrolled: 1-line block ×3, first 2 shown]
	v_or_b32_e32 v2, 0x64006400, v2
	v_or_b32_e32 v20, 0x64006400, v20
	;; [unrolled: 1-line block ×4, first 2 shown]
	v_pk_fma_f16 v53, v2, s18, v34 op_sel_hi:[1,0,1]
	v_pk_fma_f16 v54, v20, s19, v26 op_sel_hi:[1,0,1]
	;; [unrolled: 1-line block ×4, first 2 shown]
	ds_read2_b32 v[2:3], v22 offset0:2 offset1:3
	ds_read2_b32 v[20:21], v22 offset0:4 offset1:5
	;; [unrolled: 1-line block ×3, first 2 shown]
	s_waitcnt lgkmcnt(3)
	v_pk_fma_f16 v35, v35, v0, 0
	v_or_b32_e32 v46, 0x64006400, v46
	v_pk_fma_f16 v35, v36, v1, v35
	v_pk_fma_f16 v34, v46, s18, v34 op_sel_hi:[1,0,1]
	s_waitcnt lgkmcnt(2)
	v_pk_fma_f16 v35, v37, v2, v35
	s_add_i32 s2, s2, 32
	v_pk_fma_f16 v35, v38, v3, v35
	s_cmp_ge_i32 s22, s23
	s_waitcnt lgkmcnt(1)
	v_pk_fma_f16 v19, v19, v20, v35
	s_nop 0
	v_pk_fma_f16 v19, v27, v21, v19
	v_pk_fma_f16 v27, v39, v0, 0
	s_waitcnt lgkmcnt(0)
	v_pk_fma_f16 v19, v28, v22, v19
	v_pk_fma_f16 v27, v40, v1, v27
	;; [unrolled: 1-line block ×4, first 2 shown]
	s_nop 0
	v_pk_fma_f16 v27, v42, v3, v27
	s_nop 0
	v_pk_fma_f16 v27, v44, v20, v27
	;; [unrolled: 2-line block ×5, first 2 shown]
	s_nop 0
	v_pack_b32_f16 v27, v19, v24
	v_perm_b32 v19, v24, v19, s20
	v_pk_fma_f16 v24, v48, v0, 0
	v_pk_fma_f16 v0, v47, v0, 0
	;; [unrolled: 1-line block ×16, first 2 shown]
	v_pk_add_f16 v19, v27, v19
	v_pack_b32_f16 v1, v0, v24
	v_perm_b32 v0, v24, v0, s20
	v_pk_add_f16 v0, v1, v0
	v_pk_fma_f16 v11, v19, v6, v11
	v_pk_fma_f16 v5, v0, v7, v5 op_sel:[0,1,0] op_sel_hi:[1,0,1]
	s_cbranch_scc1 .LBB15_11
.LBB15_8:                               ; =>This Inner Loop Header: Depth=1
	s_cmp_lg_u32 s22, s21
	s_cbranch_scc1 .LBB15_7
; %bb.9:                                ;   in Loop: Header=BB15_8 Depth=1
	s_add_i32 s5, s5, 1
	s_mul_i32 s8, s5, s16
	s_ashr_i32 s9, s8, 31
	s_lshr_b32 s9, s9, 28
	s_add_i32 s9, s8, s9
	s_ashr_i32 s9, s9, 4
	v_add_u32_e32 v0, s9, v10
	v_ashrrev_i32_e32 v1, 31, v0
	v_lshl_add_u64 v[0:1], v[0:1], 2, s[10:11]
	global_load_dword v2, v[0:1], off
	v_add_u32_e32 v0, s8, v4
	v_ashrrev_i32_e32 v1, 31, v0
	v_lshl_add_u64 v[0:1], v[0:1], 1, s[12:13]
	global_load_dwordx2 v[6:7], v[0:1], off
	s_add_i32 s21, s21, s4
	s_waitcnt vmcnt(1)
	v_lshrrev_b32_e32 v0, v13, v2
	v_bfe_u32 v15, v2, v13, 2
	v_bfe_u32 v16, v0, 2, 2
	v_bfe_u32 v17, v0, 4, 2
	v_bfe_u32 v18, v0, 6, 2
	s_branch .LBB15_7
.LBB15_10:
	v_mov_b32_e32 v5, 0
	v_mov_b32_e32 v11, 0
	;; [unrolled: 1-line block ×3, first 2 shown]
	s_branch .LBB15_12
.LBB15_11:
	v_lshrrev_b32_e32 v6, 16, v5
	v_lshlrev_b32_e32 v5, 16, v5
.LBB15_12:
	s_mul_i32 s0, s16, s3
	v_add_u32_e32 v0, s0, v4
	v_ashrrev_i32_e32 v1, 31, v0
	v_lshl_add_u64 v[0:1], v[0:1], 1, s[14:15]
	global_load_dword v3, v[0:1], off
	s_mov_b64 s[0:1], 0
.LBB15_13:                              ; =>This Inner Loop Header: Depth=1
	s_waitcnt vmcnt(0)
	v_pk_add_f16 v2, v11, v3
	global_atomic_cmpswap v2, v[0:1], v[2:3], off sc0
	s_waitcnt vmcnt(0)
	v_cmp_eq_u32_e32 vcc, v3, v2
	s_or_b64 s[0:1], vcc, s[0:1]
	v_mov_b32_e32 v3, v2
	s_andn2_b64 exec, exec, s[0:1]
	s_cbranch_execnz .LBB15_13
; %bb.14:
	s_or_b64 exec, exec, s[0:1]
	global_load_dword v3, v[0:1], off offset:4
	v_or_b32_e32 v4, v5, v6
	s_mov_b64 s[0:1], 0
.LBB15_15:                              ; =>This Inner Loop Header: Depth=1
	s_waitcnt vmcnt(0)
	v_pk_add_f16 v2, v4, v3
	global_atomic_cmpswap v2, v[0:1], v[2:3], off offset:4 sc0
	s_waitcnt vmcnt(0)
	v_cmp_eq_u32_e32 vcc, v3, v2
	s_or_b64 s[0:1], vcc, s[0:1]
	v_mov_b32_e32 v3, v2
	s_andn2_b64 exec, exec, s[0:1]
	s_cbranch_execnz .LBB15_15
.LBB15_16:
	s_endpgm
	.section	.rodata,"a",@progbits
	.p2align	6, 0x0
	.amdhsa_kernel _ZN4vllm4gptq33gemm_half_q_half_gptq_2bit_kernelILb1ELi1EEEvPK6__halfPKjS6_S4_PS2_iiiibPKi
		.amdhsa_group_segment_fixed_size 256
		.amdhsa_private_segment_fixed_size 0
		.amdhsa_kernarg_size 72
		.amdhsa_user_sgpr_count 2
		.amdhsa_user_sgpr_dispatch_ptr 0
		.amdhsa_user_sgpr_queue_ptr 0
		.amdhsa_user_sgpr_kernarg_segment_ptr 1
		.amdhsa_user_sgpr_dispatch_id 0
		.amdhsa_user_sgpr_kernarg_preload_length 0
		.amdhsa_user_sgpr_kernarg_preload_offset 0
		.amdhsa_user_sgpr_private_segment_size 0
		.amdhsa_uses_dynamic_stack 0
		.amdhsa_enable_private_segment 0
		.amdhsa_system_sgpr_workgroup_id_x 1
		.amdhsa_system_sgpr_workgroup_id_y 1
		.amdhsa_system_sgpr_workgroup_id_z 1
		.amdhsa_system_sgpr_workgroup_info 0
		.amdhsa_system_vgpr_workitem_id 0
		.amdhsa_next_free_vgpr 56
		.amdhsa_next_free_sgpr 24
		.amdhsa_accum_offset 56
		.amdhsa_reserve_vcc 1
		.amdhsa_float_round_mode_32 0
		.amdhsa_float_round_mode_16_64 0
		.amdhsa_float_denorm_mode_32 3
		.amdhsa_float_denorm_mode_16_64 3
		.amdhsa_dx10_clamp 1
		.amdhsa_ieee_mode 1
		.amdhsa_fp16_overflow 0
		.amdhsa_tg_split 0
		.amdhsa_exception_fp_ieee_invalid_op 0
		.amdhsa_exception_fp_denorm_src 0
		.amdhsa_exception_fp_ieee_div_zero 0
		.amdhsa_exception_fp_ieee_overflow 0
		.amdhsa_exception_fp_ieee_underflow 0
		.amdhsa_exception_fp_ieee_inexact 0
		.amdhsa_exception_int_div_zero 0
	.end_amdhsa_kernel
	.section	.text._ZN4vllm4gptq33gemm_half_q_half_gptq_2bit_kernelILb1ELi1EEEvPK6__halfPKjS6_S4_PS2_iiiibPKi,"axG",@progbits,_ZN4vllm4gptq33gemm_half_q_half_gptq_2bit_kernelILb1ELi1EEEvPK6__halfPKjS6_S4_PS2_iiiibPKi,comdat
.Lfunc_end15:
	.size	_ZN4vllm4gptq33gemm_half_q_half_gptq_2bit_kernelILb1ELi1EEEvPK6__halfPKjS6_S4_PS2_iiiibPKi, .Lfunc_end15-_ZN4vllm4gptq33gemm_half_q_half_gptq_2bit_kernelILb1ELi1EEEvPK6__halfPKjS6_S4_PS2_iiiibPKi
                                        ; -- End function
	.set _ZN4vllm4gptq33gemm_half_q_half_gptq_2bit_kernelILb1ELi1EEEvPK6__halfPKjS6_S4_PS2_iiiibPKi.num_vgpr, 56
	.set _ZN4vllm4gptq33gemm_half_q_half_gptq_2bit_kernelILb1ELi1EEEvPK6__halfPKjS6_S4_PS2_iiiibPKi.num_agpr, 0
	.set _ZN4vllm4gptq33gemm_half_q_half_gptq_2bit_kernelILb1ELi1EEEvPK6__halfPKjS6_S4_PS2_iiiibPKi.numbered_sgpr, 24
	.set _ZN4vllm4gptq33gemm_half_q_half_gptq_2bit_kernelILb1ELi1EEEvPK6__halfPKjS6_S4_PS2_iiiibPKi.num_named_barrier, 0
	.set _ZN4vllm4gptq33gemm_half_q_half_gptq_2bit_kernelILb1ELi1EEEvPK6__halfPKjS6_S4_PS2_iiiibPKi.private_seg_size, 0
	.set _ZN4vllm4gptq33gemm_half_q_half_gptq_2bit_kernelILb1ELi1EEEvPK6__halfPKjS6_S4_PS2_iiiibPKi.uses_vcc, 1
	.set _ZN4vllm4gptq33gemm_half_q_half_gptq_2bit_kernelILb1ELi1EEEvPK6__halfPKjS6_S4_PS2_iiiibPKi.uses_flat_scratch, 0
	.set _ZN4vllm4gptq33gemm_half_q_half_gptq_2bit_kernelILb1ELi1EEEvPK6__halfPKjS6_S4_PS2_iiiibPKi.has_dyn_sized_stack, 0
	.set _ZN4vllm4gptq33gemm_half_q_half_gptq_2bit_kernelILb1ELi1EEEvPK6__halfPKjS6_S4_PS2_iiiibPKi.has_recursion, 0
	.set _ZN4vllm4gptq33gemm_half_q_half_gptq_2bit_kernelILb1ELi1EEEvPK6__halfPKjS6_S4_PS2_iiiibPKi.has_indirect_call, 0
	.section	.AMDGPU.csdata,"",@progbits
; Kernel info:
; codeLenInByte = 2500
; TotalNumSgprs: 30
; NumVgprs: 56
; NumAgprs: 0
; TotalNumVgprs: 56
; ScratchSize: 0
; MemoryBound: 0
; FloatMode: 240
; IeeeMode: 1
; LDSByteSize: 256 bytes/workgroup (compile time only)
; SGPRBlocks: 3
; VGPRBlocks: 6
; NumSGPRsForWavesPerEU: 30
; NumVGPRsForWavesPerEU: 56
; AccumOffset: 56
; Occupancy: 8
; WaveLimiterHint : 0
; COMPUTE_PGM_RSRC2:SCRATCH_EN: 0
; COMPUTE_PGM_RSRC2:USER_SGPR: 2
; COMPUTE_PGM_RSRC2:TRAP_HANDLER: 0
; COMPUTE_PGM_RSRC2:TGID_X_EN: 1
; COMPUTE_PGM_RSRC2:TGID_Y_EN: 1
; COMPUTE_PGM_RSRC2:TGID_Z_EN: 1
; COMPUTE_PGM_RSRC2:TIDIG_COMP_CNT: 0
; COMPUTE_PGM_RSRC3_GFX90A:ACCUM_OFFSET: 13
; COMPUTE_PGM_RSRC3_GFX90A:TG_SPLIT: 0
	.section	.text._ZN4vllm4gptq33gemm_half_q_half_gptq_3bit_kernelILb1ELi1EEEvPK6__halfPKjS6_S4_PS2_iiiibPKi,"axG",@progbits,_ZN4vllm4gptq33gemm_half_q_half_gptq_3bit_kernelILb1ELi1EEEvPK6__halfPKjS6_S4_PS2_iiiibPKi,comdat
	.protected	_ZN4vllm4gptq33gemm_half_q_half_gptq_3bit_kernelILb1ELi1EEEvPK6__halfPKjS6_S4_PS2_iiiibPKi ; -- Begin function _ZN4vllm4gptq33gemm_half_q_half_gptq_3bit_kernelILb1ELi1EEEvPK6__halfPKjS6_S4_PS2_iiiibPKi
	.globl	_ZN4vllm4gptq33gemm_half_q_half_gptq_3bit_kernelILb1ELi1EEEvPK6__halfPKjS6_S4_PS2_iiiibPKi
	.p2align	8
	.type	_ZN4vllm4gptq33gemm_half_q_half_gptq_3bit_kernelILb1ELi1EEEvPK6__halfPKjS6_S4_PS2_iiiibPKi,@function
_ZN4vllm4gptq33gemm_half_q_half_gptq_3bit_kernelILb1ELi1EEEvPK6__halfPKjS6_S4_PS2_iiiibPKi: ; @_ZN4vllm4gptq33gemm_half_q_half_gptq_3bit_kernelILb1ELi1EEEvPK6__halfPKjS6_S4_PS2_iiiibPKi
; %bb.0:
	s_load_dwordx4 s[16:19], s[0:1], 0x2c
	s_load_dwordx8 s[8:15], s[0:1], 0x8
	s_lshl_b32 s28, s4, 7
	s_add_i32 s4, s28, 0x80
	v_cvt_f64_u32_e32 v[2:3], s4
	s_waitcnt lgkmcnt(0)
	v_cvt_f64_i32_e32 v[4:5], s17
	v_min_f64 v[2:3], v[2:3], v[4:5]
	v_cvt_i32_f64_e32 v1, v[2:3]
	v_add_u32_e32 v2, s28, v0
	v_readfirstlane_b32 s29, v1
	v_cmp_lt_u32_e32 vcc, v2, v1
	s_and_saveexec_b64 s[4:5], vcc
	s_cbranch_execz .LBB16_4
; %bb.1:
	s_load_dwordx2 s[20:21], s[0:1], 0x40
	s_load_dwordx2 s[6:7], s[0:1], 0x0
	v_mov_b32_e32 v3, 0
	s_waitcnt lgkmcnt(0)
	s_cmp_eq_u64 s[20:21], 0
	s_cbranch_scc1 .LBB16_3
; %bb.2:
	v_lshl_add_u64 v[2:3], v[2:3], 2, s[20:21]
	global_load_dword v2, v[2:3], off
	s_waitcnt vmcnt(0)
	v_ashrrev_i32_e32 v3, 31, v2
.LBB16_3:
	s_mul_i32 s0, s17, s3
	s_ashr_i32 s1, s0, 31
	s_lshl_b64 s[0:1], s[0:1], 1
	s_add_u32 s0, s6, s0
	s_addc_u32 s1, s7, s1
	v_lshl_add_u64 v[2:3], v[2:3], 1, s[0:1]
	global_load_ushort v1, v[2:3], off
	v_lshlrev_b32_e32 v2, 1, v0
	s_waitcnt vmcnt(0)
	ds_write_b16 v2, v1
.LBB16_4:
	s_or_b64 exec, exec, s[4:5]
	v_lshlrev_b32_e32 v0, 2, v0
	v_lshl_add_u32 v12, s2, 9, v0
	v_cmp_gt_i32_e32 vcc, s16, v12
	s_and_saveexec_b64 s[0:1], vcc
	s_cbranch_execz .LBB16_48
; %bb.5:
	s_abs_i32 s0, s18
	v_cvt_f32_u32_e32 v1, s0
	s_sub_i32 s4, 0, s0
	s_abs_i32 s2, s17
	s_xor_b32 s1, s17, s18
	v_rcp_iflag_f32_e32 v1, v1
	s_ashr_i32 s1, s1, 31
	v_and_b32_e32 v2, 28, v0
	v_cmp_lt_u32_e32 vcc, 4, v2
	v_mul_f32_e32 v1, 0x4f7ffffe, v1
	v_cvt_u32_f32_e32 v1, v1
	s_waitcnt lgkmcnt(0)
	s_barrier
	v_readfirstlane_b32 s5, v1
	s_mul_i32 s4, s4, s5
	s_mul_hi_u32 s4, s5, s4
	s_add_i32 s5, s5, s4
	s_mul_hi_u32 s4, s2, s5
	s_mul_i32 s5, s4, s0
	s_sub_i32 s2, s2, s5
	s_add_i32 s6, s4, 1
	s_sub_i32 s5, s2, s0
	s_cmp_ge_u32 s2, s0
	s_cselect_b32 s4, s6, s4
	s_cselect_b32 s2, s5, s2
	s_add_i32 s5, s4, 1
	s_cmp_ge_u32 s2, s0
	s_cselect_b32 s0, s5, s4
	s_xor_b32 s0, s0, s1
	s_sub_i32 s2, s0, s1
	v_cvt_f32_u32_e32 v1, s2
	s_sub_i32 s0, 0, s2
                                        ; implicit-def: $vgpr3
	v_rcp_iflag_f32_e32 v1, v1
	s_nop 0
	v_mul_f32_e32 v1, 0x4f7ffffe, v1
	v_cvt_u32_f32_e32 v1, v1
	s_nop 0
	v_readfirstlane_b32 s1, v1
	s_mul_i32 s0, s0, s1
	s_mul_hi_u32 s0, s1, s0
	s_add_i32 s1, s1, s0
	s_mul_hi_u32 s0, s28, s1
	s_mul_i32 s1, s0, s2
	s_sub_i32 s1, s28, s1
	s_add_i32 s4, s0, 1
	s_sub_i32 s5, s1, s2
	s_cmp_ge_u32 s1, s2
	s_cselect_b32 s0, s4, s0
	s_cselect_b32 s1, s5, s1
	s_add_i32 s4, s0, 1
	s_cmp_ge_u32 s1, s2
	s_cselect_b32 s30, s4, s0
	s_mul_i32 s17, s30, s16
	s_and_saveexec_b64 s[0:1], vcc
	s_xor_b64 s[4:5], exec, s[0:1]
	s_cbranch_execz .LBB16_19
; %bb.6:
	v_cmp_ne_u32_e64 s[0:1], 8, v2
                                        ; implicit-def: $vgpr3
	s_and_saveexec_b64 s[6:7], s[0:1]
	s_xor_b64 s[6:7], exec, s[6:7]
	s_cbranch_execz .LBB16_16
; %bb.7:
	v_cmp_lt_u32_e64 s[0:1], 16, v2
                                        ; implicit-def: $vgpr3
	s_and_saveexec_b64 s[20:21], s[0:1]
	s_xor_b64 s[20:21], exec, s[20:21]
	s_cbranch_execz .LBB16_13
; %bb.8:
	v_lshl_add_u32 v0, v12, 1, v12
	s_ashr_i32 s0, s17, 31
	v_ashrrev_i32_e32 v1, 31, v0
	s_lshr_b32 s0, s0, 27
	v_lshrrev_b32_e32 v1, 27, v1
	s_add_i32 s0, s17, s0
	v_add_u32_e32 v0, v0, v1
	s_ashr_i32 s0, s0, 5
	v_ashrrev_i32_e32 v0, 5, v0
	v_mad_u64_u32 v[0:1], s[0:1], s0, 3, v[0:1]
	v_ashrrev_i32_e32 v1, 31, v0
	v_lshl_add_u64 v[0:1], v[0:1], 2, s[10:11]
	global_load_dword v4, v[0:1], off
	v_cmp_ne_u32_e64 s[0:1], 20, v2
                                        ; implicit-def: $vgpr3
	s_and_saveexec_b64 s[22:23], s[0:1]
	s_xor_b64 s[0:1], exec, s[22:23]
	s_cbranch_execz .LBB16_10
; %bb.9:
	v_not_b32_e32 v0, 63
	v_mad_u32_u24 v0, v2, 3, v0
	s_waitcnt vmcnt(0)
	v_lshrrev_b32_e32 v3, v0, v4
                                        ; implicit-def: $vgpr0_vgpr1
                                        ; implicit-def: $vgpr4
.LBB16_10:
	s_andn2_saveexec_b64 s[0:1], s[0:1]
	s_cbranch_execz .LBB16_12
; %bb.11:
	global_load_dword v0, v[0:1], off offset:4
	s_waitcnt vmcnt(0)
	v_alignbit_b32 v0, v0, v4, 28
	v_and_b32_e32 v3, 0xfff, v0
.LBB16_12:
	s_or_b64 exec, exec, s[0:1]
.LBB16_13:
	s_andn2_saveexec_b64 s[0:1], s[20:21]
	s_cbranch_execz .LBB16_15
; %bb.14:
	v_lshl_add_u32 v0, v12, 1, v12
	s_ashr_i32 s18, s17, 31
	v_ashrrev_i32_e32 v1, 31, v0
	s_lshr_b32 s18, s18, 27
	v_lshrrev_b32_e32 v1, 27, v1
	s_add_i32 s18, s17, s18
	v_add_u32_e32 v0, v0, v1
	s_ashr_i32 s18, s18, 5
	v_ashrrev_i32_e32 v0, 5, v0
	v_mad_u64_u32 v[0:1], s[20:21], s18, 3, v[0:1]
	v_ashrrev_i32_e32 v1, 31, v0
	v_lshl_add_u64 v[0:1], v[0:1], 2, s[10:11]
	global_load_dword v0, v[0:1], off
	v_not_b32_e32 v1, 31
	v_mad_u32_u24 v1, v2, 3, v1
	s_waitcnt vmcnt(0)
	v_lshrrev_b32_e32 v3, v1, v0
.LBB16_15:
	s_or_b64 exec, exec, s[0:1]
.LBB16_16:
	s_andn2_saveexec_b64 s[0:1], s[6:7]
	s_cbranch_execz .LBB16_18
; %bb.17:
	v_lshl_add_u32 v0, v12, 1, v12
	s_ashr_i32 s6, s17, 31
	v_ashrrev_i32_e32 v1, 31, v0
	s_lshr_b32 s6, s6, 27
	v_lshrrev_b32_e32 v1, 27, v1
	s_add_i32 s6, s17, s6
	v_add_u32_e32 v0, v0, v1
	s_ashr_i32 s6, s6, 5
	v_ashrrev_i32_e32 v0, 5, v0
	v_mad_u64_u32 v[0:1], s[6:7], s6, 3, v[0:1]
	v_ashrrev_i32_e32 v1, 31, v0
	v_lshl_add_u64 v[0:1], v[0:1], 2, s[10:11]
	global_load_dwordx2 v[0:1], v[0:1], off
	s_mov_b32 s6, 0x2010007
	s_waitcnt vmcnt(0)
	v_perm_b32 v0, v0, v1, s6
	v_and_b32_e32 v3, 0xfff, v0
.LBB16_18:
	s_or_b64 exec, exec, s[0:1]
.LBB16_19:
	s_or_saveexec_b64 s[0:1], s[4:5]
	v_lshl_add_u32 v0, v12, 1, v12
	v_ashrrev_i32_e32 v1, 31, v0
	v_mul_u32_u24_e32 v15, 3, v2
	s_xor_b64 exec, exec, s[0:1]
	s_cbranch_execz .LBB16_21
; %bb.20:
	s_ashr_i32 s4, s17, 31
	s_lshr_b32 s4, s4, 27
	v_lshrrev_b32_e32 v3, 27, v1
	s_add_i32 s4, s17, s4
	v_add_u32_e32 v3, v0, v3
	s_ashr_i32 s4, s4, 5
	s_waitcnt vmcnt(0)
	v_ashrrev_i32_e32 v4, 5, v3
	v_mad_u64_u32 v[4:5], s[4:5], s4, 3, v[4:5]
	v_ashrrev_i32_e32 v5, 31, v4
	v_lshl_add_u64 v[4:5], v[4:5], 2, s[10:11]
	global_load_dword v3, v[4:5], off
	s_waitcnt vmcnt(0)
	v_lshrrev_b32_e32 v3, v15, v3
.LBB16_21:
	s_or_b64 exec, exec, s[0:1]
	s_cmp_ge_i32 s28, s29
	s_cbranch_scc1 .LBB16_42
; %bb.22:
	s_waitcnt vmcnt(0)
	v_add_u32_e32 v4, s17, v12
	v_ashrrev_i32_e32 v5, 31, v4
	v_lshl_add_u64 v[4:5], v[4:5], 1, s[12:13]
	global_load_dwordx2 v[18:19], v[4:5], off
	s_lshr_b32 s0, s28, 5
	s_mul_i32 s0, s0, s16
	s_mul_i32 s20, s0, 3
	s_add_i32 s31, s2, s28
	s_ashr_i32 s21, s20, 31
	s_bitcmp1_b32 s19, 0
	s_cselect_b64 s[0:1], -1, 0
	v_lshrrev_b32_e32 v1, 27, v1
	s_xor_b64 s[0:1], s[0:1], -1
	v_add_u32_e32 v0, v0, v1
	s_ashr_i32 s17, s16, 31
	s_lshl_b64 s[18:19], s[20:21], 2
	v_ashrrev_i32_e32 v14, 5, v0
	v_not_b32_e32 v0, 63
	s_add_u32 s8, s8, s18
	v_ashrrev_i32_e32 v13, 31, v12
	v_mad_u32_u24 v21, v2, 3, v0
	v_not_b32_e32 v0, 31
	s_addc_u32 s9, s9, s19
	v_cndmask_b32_e64 v20, 0, 1, s[0:1]
	v_bfe_u32 v25, v3, 9, 3
	v_bfe_u32 v26, v3, 6, 3
	;; [unrolled: 1-line block ×3, first 2 shown]
	v_and_b32_e32 v28, 7, v3
	v_cmp_ne_u32_e64 s[0:1], 8, v2
	v_cmp_lt_u32_e64 s[6:7], 16, v2
	v_cmp_ne_u32_e64 s[4:5], 20, v2
	v_mad_u32_u24 v22, v2, 3, v0
	v_lshl_add_u64 v[16:17], v[12:13], 2, s[8:9]
	s_mul_hi_i32 s9, s16, 12
	s_mul_i32 s8, s16, 12
	s_lshl_b64 s[18:19], s[16:17], 2
	s_mov_b32 s17, 0
	v_mov_b32_e32 v13, 0
	s_mov_b32 s33, 0x2010007
	s_mov_b32 s34, 0x10001
	v_mov_b32_e32 v23, 0xe400e400
	s_mov_b32 s35, 0x64006400
	s_movk_i32 s36, 0x3000
	s_movk_i32 s37, 0x2400
	s_mov_b32 s38, 0x7060302
	v_mov_b32_e32 v24, 0
	s_branch .LBB16_25
.LBB16_23:                              ;   in Loop: Header=BB16_25 Depth=1
	s_or_b64 exec, exec, s[20:21]
	v_add_u32_e32 v0, s39, v12
	v_ashrrev_i32_e32 v1, 31, v0
	v_lshl_add_u64 v[0:1], v[0:1], 1, s[12:13]
	global_load_dwordx2 v[18:19], v[0:1], off
	s_add_i32 s31, s31, s2
	v_and_b32_e32 v28, 7, v2
	v_bfe_u32 v27, v2, 3, 3
	v_bfe_u32 v26, v2, 6, 3
	;; [unrolled: 1-line block ×3, first 2 shown]
.LBB16_24:                              ;   in Loop: Header=BB16_25 Depth=1
	global_load_dwordx4 v[8:11], v[16:17], off
	v_lshl_add_u64 v[0:1], v[16:17], 0, s[18:19]
	global_load_dwordx4 v[4:7], v[0:1], off
	v_lshl_add_u64 v[0:1], v[0:1], 0, s[18:19]
	global_load_dwordx4 v[0:3], v[0:1], off
	v_add_u32_e32 v29, v28, v20
	v_cvt_f32_u32_e32 v30, v29
	s_add_i32 s28, s28, 32
	v_lshl_add_u64 v[16:17], v[16:17], 0, s[8:9]
	v_cvt_f16_f32_e32 v30, v30
	v_sub_f16_e32 v31, 0xd800, v30
	v_mul_u32_u24_e32 v31, 0x10001, v31
	v_sub_f16_e32 v30, 0xcc00, v30
	v_mul_u32_u24_e32 v30, 0x10001, v30
	s_waitcnt vmcnt(2)
	v_lshrrev_b32_e32 v34, 6, v8
	v_and_b32_e32 v56, 0x380038, v34
	s_waitcnt vmcnt(1)
	v_and_b32_e32 v44, 0x70007, v4
	v_and_b32_e32 v45, 0x380038, v4
	v_lshrrev_b32_e32 v46, 6, v4
	v_lshrrev_b32_e32 v4, 14, v4
	v_and_b32_e32 v32, 0x70007, v8
	v_and_b32_e32 v33, 0x380038, v8
	v_lshrrev_b32_e32 v8, 15, v8
	s_waitcnt vmcnt(0)
	v_and_b32_e32 v58, 0x70007, v0
	v_and_b32_e32 v59, 0x380038, v0
	v_lshrrev_b32_e32 v60, 6, v0
	v_lshrrev_b32_e32 v0, 13, v0
	v_and_b32_e32 v61, 0x70007, v1
	v_and_b32_e32 v62, 0x380038, v1
	v_lshrrev_b32_e32 v63, 6, v1
	v_lshrrev_b32_e32 v64, 13, v1
	v_and_b32_e32 v1, 0x20002, v4
	v_or_b32_e32 v4, 0x64006400, v56
	v_and_b32_e32 v56, 0x380038, v46
	v_and_b32_e32 v71, 0x1c001c0, v46
	v_and_or_b32 v1, v8, s34, v1
	v_and_b32_e32 v0, 0x40004, v0
	v_or_b32_e32 v8, 0x64006400, v56
	v_or_b32_e32 v56, 0x64006400, v59
	v_pk_fma_f16 v59, v4, s36, v31 op_sel_hi:[1,0,1]
	v_and_b32_e32 v4, 0x380038, v60
	v_and_b32_e32 v72, 0x1c001c0, v60
	;; [unrolled: 1-line block ×3, first 2 shown]
	v_or_b32_e32 v71, 0x64006400, v71
	v_or3_b32 v73, v1, v0, s35
	v_or_b32_e32 v1, 0x64006400, v4
	v_or_b32_e32 v4, 0x64006400, v72
	;; [unrolled: 1-line block ×3, first 2 shown]
	v_pk_fma_f16 v74, v8, s36, v31 op_sel_hi:[1,0,1]
	v_pk_fma_f16 v0, v56, s36, v31 op_sel_hi:[1,0,1]
	;; [unrolled: 1-line block ×4, first 2 shown]
	v_mad_u32_u24 v4, v29, s34, v23
	v_or_b32_e32 v8, 0x64006400, v32
	v_or_b32_e32 v33, 0x64006400, v33
	;; [unrolled: 1-line block ×3, first 2 shown]
	v_pk_fma_f16 v57, v57, s37, v30 op_sel_hi:[1,0,1]
	v_or_b32_e32 v30, 0x64006400, v44
	v_or_b32_e32 v32, 0x64006400, v58
	v_pk_add_f16 v44, v4, v8
	v_add_u32_e32 v8, v27, v20
	v_pk_fma_f16 v33, v33, s36, v31 op_sel_hi:[1,0,1]
	v_pk_fma_f16 v45, v45, s36, v31 op_sel_hi:[1,0,1]
	;; [unrolled: 1-line block ×3, first 2 shown]
	v_and_b32_e32 v31, 0x70007, v46
	v_pk_add_f16 v46, v4, v32
	v_cvt_f32_u32_e32 v32, v8
	v_and_b32_e32 v29, 0x70007, v34
	v_and_b32_e32 v34, 0x70007, v60
	;; [unrolled: 1-line block ×4, first 2 shown]
	v_lshrrev_b32_e32 v49, 6, v5
	v_lshrrev_b32_e32 v5, 14, v5
	v_or_b32_e32 v29, 0x64006400, v29
	v_or_b32_e32 v31, 0x64006400, v31
	;; [unrolled: 1-line block ×3, first 2 shown]
	v_pk_add_f16 v29, v4, v29
	v_pk_add_f16 v30, v4, v30
	v_pk_add_f16 v31, v4, v31
	v_pk_add_f16 v58, v4, v34
	v_pk_add_f16 v60, v4, v73
	v_and_b32_e32 v4, 0x20002, v5
	v_cvt_f16_f32_e32 v5, v32
	v_and_b32_e32 v35, 0x70007, v9
	v_and_b32_e32 v36, 0x380038, v9
	v_lshrrev_b32_e32 v37, 6, v9
	v_lshrrev_b32_e32 v9, 15, v9
	v_and_or_b32 v4, v9, s34, v4
	v_and_b32_e32 v9, 0x40004, v64
	v_or3_b32 v4, v4, v9, s35
	v_sub_f16_e32 v9, 0xd800, v5
	v_or_b32_e32 v32, 0x64006400, v36
	v_and_b32_e32 v34, 0x380038, v37
	v_or_b32_e32 v36, 0x64006400, v48
	v_and_b32_e32 v48, 0x380038, v49
	v_and_b32_e32 v64, 0x380038, v63
	v_mul_u32_u24_e32 v9, 0x10001, v9
	v_or_b32_e32 v34, 0x64006400, v34
	v_or_b32_e32 v48, 0x64006400, v48
	v_or_b32_e32 v62, 0x64006400, v62
	v_or_b32_e32 v64, 0x64006400, v64
	v_pk_fma_f16 v72, v32, s36, v9 op_sel_hi:[1,0,1]
	v_pk_fma_f16 v73, v34, s36, v9 op_sel_hi:[1,0,1]
	;; [unrolled: 1-line block ×6, first 2 shown]
	v_sub_f16_e32 v5, 0xcc00, v5
	v_and_b32_e32 v9, 0x1c001c0, v37
	v_and_b32_e32 v32, 0x1c001c0, v49
	;; [unrolled: 1-line block ×3, first 2 shown]
	v_mul_u32_u24_e32 v5, 0x10001, v5
	v_or_b32_e32 v9, 0x64006400, v9
	v_or_b32_e32 v32, 0x64006400, v32
	;; [unrolled: 1-line block ×3, first 2 shown]
	v_pk_fma_f16 v75, v9, s37, v5 op_sel_hi:[1,0,1]
	v_pk_fma_f16 v76, v32, s37, v5 op_sel_hi:[1,0,1]
	;; [unrolled: 1-line block ×3, first 2 shown]
	v_mad_u32_u24 v5, v8, s34, v23
	v_or_b32_e32 v8, 0x64006400, v35
	v_and_b32_e32 v9, 0x70007, v37
	v_or_b32_e32 v9, 0x64006400, v9
	v_or_b32_e32 v32, 0x64006400, v47
	v_pk_add_f16 v47, v5, v8
	v_add_u32_e32 v8, v26, v20
	v_and_b32_e32 v34, 0x70007, v49
	v_pk_add_f16 v49, v5, v9
	v_cvt_f32_u32_e32 v9, v8
	v_and_b32_e32 v37, 0x70007, v63
	v_or_b32_e32 v34, 0x64006400, v34
	v_or_b32_e32 v35, 0x64006400, v61
	;; [unrolled: 1-line block ×3, first 2 shown]
	v_pk_add_f16 v61, v5, v32
	v_pk_add_f16 v63, v5, v34
	;; [unrolled: 1-line block ×5, first 2 shown]
	v_cvt_f16_f32_e32 v5, v9
	v_and_b32_e32 v50, 0x70007, v6
	v_and_b32_e32 v51, 0x380038, v6
	v_lshrrev_b32_e32 v52, 6, v6
	v_lshrrev_b32_e32 v6, 14, v6
	v_and_b32_e32 v38, 0x70007, v10
	v_and_b32_e32 v39, 0x380038, v10
	v_lshrrev_b32_e32 v40, 6, v10
	v_lshrrev_b32_e32 v10, 15, v10
	;; [unrolled: 4-line block ×3, first 2 shown]
	v_and_b32_e32 v4, 0x20002, v6
	v_and_or_b32 v4, v10, s34, v4
	v_and_b32_e32 v2, 0x40004, v2
	v_or3_b32 v2, v4, v2, s35
	v_sub_f16_e32 v4, 0xd800, v5
	v_and_b32_e32 v9, 0x380038, v40
	v_and_b32_e32 v32, 0x380038, v52
	;; [unrolled: 1-line block ×3, first 2 shown]
	v_mul_u32_u24_e32 v4, 0x10001, v4
	v_or_b32_e32 v6, 0x64006400, v39
	v_or_b32_e32 v9, 0x64006400, v9
	;; [unrolled: 1-line block ×6, first 2 shown]
	v_pk_fma_f16 v39, v6, s36, v4 op_sel_hi:[1,0,1]
	v_pk_fma_f16 v51, v9, s36, v4 op_sel_hi:[1,0,1]
	;; [unrolled: 1-line block ×6, first 2 shown]
	v_sub_f16_e32 v4, 0xcc00, v5
	v_and_b32_e32 v5, 0x1c001c0, v40
	v_and_b32_e32 v6, 0x1c001c0, v52
	;; [unrolled: 1-line block ×3, first 2 shown]
	v_mul_u32_u24_e32 v4, 0x10001, v4
	v_or_b32_e32 v5, 0x64006400, v5
	v_or_b32_e32 v6, 0x64006400, v6
	;; [unrolled: 1-line block ×3, first 2 shown]
	v_pk_fma_f16 v83, v5, s37, v4 op_sel_hi:[1,0,1]
	v_pk_fma_f16 v84, v6, s37, v4 op_sel_hi:[1,0,1]
	;; [unrolled: 1-line block ×3, first 2 shown]
	v_mad_u32_u24 v4, v8, s34, v23
	v_or_b32_e32 v5, 0x64006400, v38
	v_and_b32_e32 v6, 0x70007, v40
	v_or_b32_e32 v6, 0x64006400, v6
	v_pk_add_f16 v38, v4, v5
	v_add_u32_e32 v5, v25, v20
	v_pk_add_f16 v40, v4, v6
	v_cvt_f32_u32_e32 v6, v5
	v_and_b32_e32 v9, 0x70007, v52
	v_and_b32_e32 v32, 0x70007, v67
	v_or_b32_e32 v8, 0x64006400, v50
	v_or_b32_e32 v9, 0x64006400, v9
	;; [unrolled: 1-line block ×4, first 2 shown]
	v_pk_add_f16 v50, v4, v8
	v_pk_add_f16 v52, v4, v9
	;; [unrolled: 1-line block ×5, first 2 shown]
	v_cvt_f16_f32_e32 v4, v6
	v_and_b32_e32 v53, 0x70007, v7
	v_and_b32_e32 v54, 0x380038, v7
	v_lshrrev_b32_e32 v55, 6, v7
	v_lshrrev_b32_e32 v7, 14, v7
	v_and_b32_e32 v41, 0x70007, v11
	v_and_b32_e32 v42, 0x380038, v11
	v_lshrrev_b32_e32 v43, 6, v11
	v_lshrrev_b32_e32 v11, 15, v11
	;; [unrolled: 4-line block ×3, first 2 shown]
	v_and_b32_e32 v2, 0x20002, v7
	v_and_or_b32 v2, v11, s34, v2
	v_and_b32_e32 v3, 0x40004, v3
	v_or3_b32 v6, v2, v3, s35
	v_sub_f16_e32 v2, 0xd800, v4
	v_and_b32_e32 v7, 0x380038, v43
	v_and_b32_e32 v9, 0x380038, v55
	;; [unrolled: 1-line block ×3, first 2 shown]
	v_mul_u32_u24_e32 v2, 0x10001, v2
	v_or_b32_e32 v3, 0x64006400, v42
	v_or_b32_e32 v7, 0x64006400, v7
	v_or_b32_e32 v8, 0x64006400, v54
	v_or_b32_e32 v9, 0x64006400, v9
	v_or_b32_e32 v10, 0x64006400, v69
	v_or_b32_e32 v11, 0x64006400, v11
	v_pk_fma_f16 v42, v3, s36, v2 op_sel_hi:[1,0,1]
	v_pk_fma_f16 v54, v7, s36, v2 op_sel_hi:[1,0,1]
	;; [unrolled: 1-line block ×6, first 2 shown]
	v_sub_f16_e32 v2, 0xcc00, v4
	v_and_b32_e32 v3, 0x1c001c0, v43
	v_mul_u32_u24_e32 v2, 0x10001, v2
	v_or_b32_e32 v3, 0x64006400, v3
	v_and_b32_e32 v4, 0x1c001c0, v55
	v_and_b32_e32 v7, 0x1c001c0, v70
	v_or_b32_e32 v4, 0x64006400, v4
	v_or_b32_e32 v7, 0x64006400, v7
	v_pk_fma_f16 v90, v3, s37, v2 op_sel_hi:[1,0,1]
	v_and_b32_e32 v3, 0x70007, v43
	v_pk_fma_f16 v91, v4, s37, v2 op_sel_hi:[1,0,1]
	v_pk_fma_f16 v92, v7, s37, v2 op_sel_hi:[1,0,1]
	v_mad_u32_u24 v4, v5, s34, v23
	v_or_b32_e32 v2, 0x64006400, v41
	v_or_b32_e32 v3, 0x64006400, v3
	v_mov_b32_e32 v34, s17
	v_pk_add_f16 v41, v4, v2
	v_pk_add_f16 v43, v4, v3
	ds_read2_b32 v[2:3], v34 offset1:1
	v_and_b32_e32 v7, 0x70007, v55
	v_and_b32_e32 v9, 0x70007, v70
	v_or_b32_e32 v5, 0x64006400, v53
	v_or_b32_e32 v7, 0x64006400, v7
	;; [unrolled: 1-line block ×4, first 2 shown]
	v_pk_add_f16 v53, v4, v5
	v_pk_add_f16 v55, v4, v7
	;; [unrolled: 1-line block ×5, first 2 shown]
	ds_read2_b32 v[4:5], v34 offset0:2 offset1:3
	ds_read2_b32 v[6:7], v34 offset0:4 offset1:5
	;; [unrolled: 1-line block ×3, first 2 shown]
	s_waitcnt lgkmcnt(3)
	v_pk_fma_f16 v10, v44, v2, 0
	s_add_i32 s17, s17, 64
	v_pk_fma_f16 v10, v33, v3, v10
	s_cmp_ge_i32 s28, s29
	s_waitcnt lgkmcnt(2)
	v_pk_fma_f16 v10, v29, v4, v10
	s_nop 0
	v_pk_fma_f16 v10, v59, v5, v10
	s_waitcnt lgkmcnt(1)
	v_pk_fma_f16 v10, v57, v6, v10
	s_nop 0
	v_pk_fma_f16 v10, v30, v7, v10
	s_waitcnt lgkmcnt(0)
	v_pk_fma_f16 v29, v45, v8, v10
	ds_read2_b32 v[10:11], v34 offset0:8 offset1:9
	v_pk_fma_f16 v29, v31, v9, v29
	ds_read2_b32 v[30:31], v34 offset0:10 offset1:11
	ds_read2_b32 v[32:33], v34 offset0:12 offset1:13
	;; [unrolled: 1-line block ×3, first 2 shown]
	s_waitcnt lgkmcnt(3)
	v_pk_fma_f16 v29, v74, v10, v29
	s_nop 0
	v_pk_fma_f16 v29, v56, v11, v29
	s_waitcnt lgkmcnt(2)
	v_pk_fma_f16 v29, v46, v30, v29
	s_nop 0
	v_pk_fma_f16 v0, v0, v31, v29
	;; [unrolled: 4-line block ×3, first 2 shown]
	v_pk_fma_f16 v1, v47, v2, 0
	s_waitcnt lgkmcnt(0)
	v_pk_fma_f16 v0, v71, v34, v0
	v_pk_fma_f16 v1, v72, v3, v1
	v_pk_fma_f16 v0, v60, v35, v0
	v_pk_fma_f16 v1, v49, v4, v1
	s_nop 0
	v_pk_fma_f16 v1, v73, v5, v1
	s_nop 0
	v_pk_fma_f16 v1, v75, v6, v1
	;; [unrolled: 2-line block ×13, first 2 shown]
	s_nop 0
	v_pack_b32_f16 v29, v0, v1
	v_perm_b32 v0, v1, v0, s38
	v_pk_fma_f16 v1, v38, v2, 0
	v_pk_fma_f16 v2, v41, v2, 0
	;; [unrolled: 1-line block ×32, first 2 shown]
	v_pk_add_f16 v0, v29, v0
	v_pack_b32_f16 v3, v2, v1
	v_perm_b32 v1, v1, v2, s38
	v_pk_add_f16 v1, v3, v1
	v_pk_fma_f16 v13, v0, v18, v13
	v_pk_fma_f16 v24, v1, v19, v24 op_sel:[0,1,0] op_sel_hi:[1,0,1]
	s_cbranch_scc1 .LBB16_43
.LBB16_25:                              ; =>This Inner Loop Header: Depth=1
	s_cmp_lg_u32 s28, s31
	s_cbranch_scc1 .LBB16_24
; %bb.26:                               ;   in Loop: Header=BB16_25 Depth=1
	s_add_i32 s30, s30, 1
	s_mul_i32 s39, s30, s16
	s_ashr_i32 s20, s39, 31
	s_lshr_b32 s20, s20, 27
	s_add_i32 s20, s39, s20
	s_ashr_i32 s20, s20, 5
	v_mad_u64_u32 v[0:1], s[20:21], s20, 3, v[14:15]
	v_ashrrev_i32_e32 v1, 31, v0
	v_lshl_add_u64 v[0:1], v[0:1], 2, s[10:11]
	global_load_dword v3, v[0:1], off
                                        ; implicit-def: $vgpr2
	s_and_saveexec_b64 s[20:21], vcc
	s_xor_b64 s[20:21], exec, s[20:21]
	s_cbranch_execz .LBB16_40
; %bb.27:                               ;   in Loop: Header=BB16_25 Depth=1
                                        ; implicit-def: $vgpr2
	s_and_saveexec_b64 s[22:23], s[0:1]
	s_xor_b64 s[22:23], exec, s[22:23]
	s_cbranch_execz .LBB16_37
; %bb.28:                               ;   in Loop: Header=BB16_25 Depth=1
                                        ; implicit-def: $vgpr2
	s_and_saveexec_b64 s[24:25], s[6:7]
	;; [unrolled: 5-line block ×3, first 2 shown]
	s_xor_b64 s[26:27], exec, s[26:27]
	s_cbranch_execz .LBB16_31
; %bb.30:                               ;   in Loop: Header=BB16_25 Depth=1
	s_waitcnt vmcnt(0)
	v_lshrrev_b32_e32 v2, v21, v3
                                        ; implicit-def: $vgpr0_vgpr1
                                        ; implicit-def: $vgpr3
.LBB16_31:                              ;   in Loop: Header=BB16_25 Depth=1
	s_andn2_saveexec_b64 s[26:27], s[26:27]
	s_cbranch_execz .LBB16_33
; %bb.32:                               ;   in Loop: Header=BB16_25 Depth=1
	global_load_dword v0, v[0:1], off offset:4
	s_waitcnt vmcnt(0)
	v_alignbit_b32 v0, v0, v3, 28
	v_and_b32_e32 v2, 0xfff, v0
.LBB16_33:                              ;   in Loop: Header=BB16_25 Depth=1
	s_or_b64 exec, exec, s[26:27]
                                        ; implicit-def: $vgpr3
.LBB16_34:                              ;   in Loop: Header=BB16_25 Depth=1
	s_andn2_saveexec_b64 s[24:25], s[24:25]
	s_cbranch_execz .LBB16_36
; %bb.35:                               ;   in Loop: Header=BB16_25 Depth=1
	s_waitcnt vmcnt(0)
	v_lshrrev_b32_e32 v2, v22, v3
.LBB16_36:                              ;   in Loop: Header=BB16_25 Depth=1
	s_or_b64 exec, exec, s[24:25]
                                        ; implicit-def: $vgpr0_vgpr1
                                        ; implicit-def: $vgpr3
.LBB16_37:                              ;   in Loop: Header=BB16_25 Depth=1
	s_andn2_saveexec_b64 s[22:23], s[22:23]
	s_cbranch_execz .LBB16_39
; %bb.38:                               ;   in Loop: Header=BB16_25 Depth=1
	global_load_dword v0, v[0:1], off offset:4
	s_waitcnt vmcnt(0)
	v_perm_b32 v0, v3, v0, s33
	v_and_b32_e32 v2, 0xfff, v0
.LBB16_39:                              ;   in Loop: Header=BB16_25 Depth=1
	s_or_b64 exec, exec, s[22:23]
                                        ; implicit-def: $vgpr3
.LBB16_40:                              ;   in Loop: Header=BB16_25 Depth=1
	s_andn2_saveexec_b64 s[20:21], s[20:21]
	s_cbranch_execz .LBB16_23
; %bb.41:                               ;   in Loop: Header=BB16_25 Depth=1
	s_waitcnt vmcnt(0)
	v_lshrrev_b32_e32 v2, v15, v3
	s_branch .LBB16_23
.LBB16_42:
	s_waitcnt vmcnt(0)
	v_mov_b32_e32 v4, 0
	v_mov_b32_e32 v13, 0
	;; [unrolled: 1-line block ×3, first 2 shown]
	s_branch .LBB16_44
.LBB16_43:
	v_lshrrev_b32_e32 v5, 16, v24
	v_lshlrev_b32_e32 v4, 16, v24
.LBB16_44:
	s_mul_i32 s0, s16, s3
	v_add_u32_e32 v0, s0, v12
	v_ashrrev_i32_e32 v1, 31, v0
	v_lshl_add_u64 v[0:1], v[0:1], 1, s[14:15]
	global_load_dword v3, v[0:1], off
	s_mov_b64 s[0:1], 0
.LBB16_45:                              ; =>This Inner Loop Header: Depth=1
	s_waitcnt vmcnt(0)
	v_pk_add_f16 v2, v13, v3
	global_atomic_cmpswap v2, v[0:1], v[2:3], off sc0
	s_waitcnt vmcnt(0)
	v_cmp_eq_u32_e32 vcc, v3, v2
	s_or_b64 s[0:1], vcc, s[0:1]
	v_mov_b32_e32 v3, v2
	s_andn2_b64 exec, exec, s[0:1]
	s_cbranch_execnz .LBB16_45
; %bb.46:
	s_or_b64 exec, exec, s[0:1]
	global_load_dword v3, v[0:1], off offset:4
	v_or_b32_e32 v4, v4, v5
	s_mov_b64 s[0:1], 0
.LBB16_47:                              ; =>This Inner Loop Header: Depth=1
	s_waitcnt vmcnt(0)
	v_pk_add_f16 v2, v4, v3
	global_atomic_cmpswap v2, v[0:1], v[2:3], off offset:4 sc0
	s_waitcnt vmcnt(0)
	v_cmp_eq_u32_e32 vcc, v3, v2
	s_or_b64 s[0:1], vcc, s[0:1]
	v_mov_b32_e32 v3, v2
	s_andn2_b64 exec, exec, s[0:1]
	s_cbranch_execnz .LBB16_47
.LBB16_48:
	s_endpgm
	.section	.rodata,"a",@progbits
	.p2align	6, 0x0
	.amdhsa_kernel _ZN4vllm4gptq33gemm_half_q_half_gptq_3bit_kernelILb1ELi1EEEvPK6__halfPKjS6_S4_PS2_iiiibPKi
		.amdhsa_group_segment_fixed_size 256
		.amdhsa_private_segment_fixed_size 0
		.amdhsa_kernarg_size 72
		.amdhsa_user_sgpr_count 2
		.amdhsa_user_sgpr_dispatch_ptr 0
		.amdhsa_user_sgpr_queue_ptr 0
		.amdhsa_user_sgpr_kernarg_segment_ptr 1
		.amdhsa_user_sgpr_dispatch_id 0
		.amdhsa_user_sgpr_kernarg_preload_length 0
		.amdhsa_user_sgpr_kernarg_preload_offset 0
		.amdhsa_user_sgpr_private_segment_size 0
		.amdhsa_uses_dynamic_stack 0
		.amdhsa_enable_private_segment 0
		.amdhsa_system_sgpr_workgroup_id_x 1
		.amdhsa_system_sgpr_workgroup_id_y 1
		.amdhsa_system_sgpr_workgroup_id_z 1
		.amdhsa_system_sgpr_workgroup_info 0
		.amdhsa_system_vgpr_workitem_id 0
		.amdhsa_next_free_vgpr 94
		.amdhsa_next_free_sgpr 40
		.amdhsa_accum_offset 96
		.amdhsa_reserve_vcc 1
		.amdhsa_float_round_mode_32 0
		.amdhsa_float_round_mode_16_64 0
		.amdhsa_float_denorm_mode_32 3
		.amdhsa_float_denorm_mode_16_64 3
		.amdhsa_dx10_clamp 1
		.amdhsa_ieee_mode 1
		.amdhsa_fp16_overflow 0
		.amdhsa_tg_split 0
		.amdhsa_exception_fp_ieee_invalid_op 0
		.amdhsa_exception_fp_denorm_src 0
		.amdhsa_exception_fp_ieee_div_zero 0
		.amdhsa_exception_fp_ieee_overflow 0
		.amdhsa_exception_fp_ieee_underflow 0
		.amdhsa_exception_fp_ieee_inexact 0
		.amdhsa_exception_int_div_zero 0
	.end_amdhsa_kernel
	.section	.text._ZN4vllm4gptq33gemm_half_q_half_gptq_3bit_kernelILb1ELi1EEEvPK6__halfPKjS6_S4_PS2_iiiibPKi,"axG",@progbits,_ZN4vllm4gptq33gemm_half_q_half_gptq_3bit_kernelILb1ELi1EEEvPK6__halfPKjS6_S4_PS2_iiiibPKi,comdat
.Lfunc_end16:
	.size	_ZN4vllm4gptq33gemm_half_q_half_gptq_3bit_kernelILb1ELi1EEEvPK6__halfPKjS6_S4_PS2_iiiibPKi, .Lfunc_end16-_ZN4vllm4gptq33gemm_half_q_half_gptq_3bit_kernelILb1ELi1EEEvPK6__halfPKjS6_S4_PS2_iiiibPKi
                                        ; -- End function
	.set _ZN4vllm4gptq33gemm_half_q_half_gptq_3bit_kernelILb1ELi1EEEvPK6__halfPKjS6_S4_PS2_iiiibPKi.num_vgpr, 94
	.set _ZN4vllm4gptq33gemm_half_q_half_gptq_3bit_kernelILb1ELi1EEEvPK6__halfPKjS6_S4_PS2_iiiibPKi.num_agpr, 0
	.set _ZN4vllm4gptq33gemm_half_q_half_gptq_3bit_kernelILb1ELi1EEEvPK6__halfPKjS6_S4_PS2_iiiibPKi.numbered_sgpr, 40
	.set _ZN4vllm4gptq33gemm_half_q_half_gptq_3bit_kernelILb1ELi1EEEvPK6__halfPKjS6_S4_PS2_iiiibPKi.num_named_barrier, 0
	.set _ZN4vllm4gptq33gemm_half_q_half_gptq_3bit_kernelILb1ELi1EEEvPK6__halfPKjS6_S4_PS2_iiiibPKi.private_seg_size, 0
	.set _ZN4vllm4gptq33gemm_half_q_half_gptq_3bit_kernelILb1ELi1EEEvPK6__halfPKjS6_S4_PS2_iiiibPKi.uses_vcc, 1
	.set _ZN4vllm4gptq33gemm_half_q_half_gptq_3bit_kernelILb1ELi1EEEvPK6__halfPKjS6_S4_PS2_iiiibPKi.uses_flat_scratch, 0
	.set _ZN4vllm4gptq33gemm_half_q_half_gptq_3bit_kernelILb1ELi1EEEvPK6__halfPKjS6_S4_PS2_iiiibPKi.has_dyn_sized_stack, 0
	.set _ZN4vllm4gptq33gemm_half_q_half_gptq_3bit_kernelILb1ELi1EEEvPK6__halfPKjS6_S4_PS2_iiiibPKi.has_recursion, 0
	.set _ZN4vllm4gptq33gemm_half_q_half_gptq_3bit_kernelILb1ELi1EEEvPK6__halfPKjS6_S4_PS2_iiiibPKi.has_indirect_call, 0
	.section	.AMDGPU.csdata,"",@progbits
; Kernel info:
; codeLenInByte = 4404
; TotalNumSgprs: 46
; NumVgprs: 94
; NumAgprs: 0
; TotalNumVgprs: 94
; ScratchSize: 0
; MemoryBound: 0
; FloatMode: 240
; IeeeMode: 1
; LDSByteSize: 256 bytes/workgroup (compile time only)
; SGPRBlocks: 5
; VGPRBlocks: 11
; NumSGPRsForWavesPerEU: 46
; NumVGPRsForWavesPerEU: 94
; AccumOffset: 96
; Occupancy: 5
; WaveLimiterHint : 0
; COMPUTE_PGM_RSRC2:SCRATCH_EN: 0
; COMPUTE_PGM_RSRC2:USER_SGPR: 2
; COMPUTE_PGM_RSRC2:TRAP_HANDLER: 0
; COMPUTE_PGM_RSRC2:TGID_X_EN: 1
; COMPUTE_PGM_RSRC2:TGID_Y_EN: 1
; COMPUTE_PGM_RSRC2:TGID_Z_EN: 1
; COMPUTE_PGM_RSRC2:TIDIG_COMP_CNT: 0
; COMPUTE_PGM_RSRC3_GFX90A:ACCUM_OFFSET: 23
; COMPUTE_PGM_RSRC3_GFX90A:TG_SPLIT: 0
	.section	.text._ZN4vllm4gptq33gemm_half_q_half_gptq_4bit_kernelILb1ELi1EEEvPK6__halfPKjS6_S4_PS2_iiiibPKi,"axG",@progbits,_ZN4vllm4gptq33gemm_half_q_half_gptq_4bit_kernelILb1ELi1EEEvPK6__halfPKjS6_S4_PS2_iiiibPKi,comdat
	.protected	_ZN4vllm4gptq33gemm_half_q_half_gptq_4bit_kernelILb1ELi1EEEvPK6__halfPKjS6_S4_PS2_iiiibPKi ; -- Begin function _ZN4vllm4gptq33gemm_half_q_half_gptq_4bit_kernelILb1ELi1EEEvPK6__halfPKjS6_S4_PS2_iiiibPKi
	.globl	_ZN4vllm4gptq33gemm_half_q_half_gptq_4bit_kernelILb1ELi1EEEvPK6__halfPKjS6_S4_PS2_iiiibPKi
	.p2align	8
	.type	_ZN4vllm4gptq33gemm_half_q_half_gptq_4bit_kernelILb1ELi1EEEvPK6__halfPKjS6_S4_PS2_iiiibPKi,@function
_ZN4vllm4gptq33gemm_half_q_half_gptq_4bit_kernelILb1ELi1EEEvPK6__halfPKjS6_S4_PS2_iiiibPKi: ; @_ZN4vllm4gptq33gemm_half_q_half_gptq_4bit_kernelILb1ELi1EEEvPK6__halfPKjS6_S4_PS2_iiiibPKi
; %bb.0:
	s_load_dwordx4 s[16:19], s[0:1], 0x2c
	s_load_dwordx8 s[8:15], s[0:1], 0x8
	s_lshl_b32 s22, s4, 7
	s_add_i32 s4, s22, 0x80
	v_cvt_f64_u32_e32 v[2:3], s4
	s_waitcnt lgkmcnt(0)
	v_cvt_f64_i32_e32 v[4:5], s17
	v_min_f64 v[2:3], v[2:3], v[4:5]
	v_cvt_i32_f64_e32 v1, v[2:3]
	v_add_u32_e32 v2, s22, v0
	v_readfirstlane_b32 s23, v1
	v_cmp_lt_u32_e32 vcc, v2, v1
	s_and_saveexec_b64 s[4:5], vcc
	s_cbranch_execz .LBB17_4
; %bb.1:
	s_load_dwordx2 s[20:21], s[0:1], 0x40
	s_load_dwordx2 s[6:7], s[0:1], 0x0
	v_mov_b32_e32 v3, 0
	s_waitcnt lgkmcnt(0)
	s_cmp_eq_u64 s[20:21], 0
	s_cbranch_scc1 .LBB17_3
; %bb.2:
	v_lshl_add_u64 v[2:3], v[2:3], 2, s[20:21]
	global_load_dword v2, v[2:3], off
	s_waitcnt vmcnt(0)
	v_ashrrev_i32_e32 v3, 31, v2
.LBB17_3:
	s_mul_i32 s0, s17, s3
	s_ashr_i32 s1, s0, 31
	s_lshl_b64 s[0:1], s[0:1], 1
	s_add_u32 s0, s6, s0
	s_addc_u32 s1, s7, s1
	v_lshl_add_u64 v[2:3], v[2:3], 1, s[0:1]
	global_load_ushort v1, v[2:3], off
	v_lshlrev_b32_e32 v2, 1, v0
	s_waitcnt vmcnt(0)
	ds_write_b16 v2, v1
.LBB17_4:
	s_or_b64 exec, exec, s[4:5]
	v_lshlrev_b32_e32 v1, 2, v0
	v_lshl_add_u32 v16, s2, 9, v1
	v_cmp_gt_i32_e32 vcc, s16, v16
	s_and_saveexec_b64 s[0:1], vcc
	s_cbranch_execz .LBB17_14
; %bb.5:
	s_abs_i32 s0, s18
	v_cvt_f32_u32_e32 v1, s0
	v_mov_b32_e32 v19, 0
	s_cmp_ge_i32 s22, s23
	v_mov_b32_e32 v18, v19
	v_rcp_iflag_f32_e32 v1, v1
	v_mov_b32_e32 v40, v19
	v_mov_b32_e32 v37, v19
	s_waitcnt lgkmcnt(0)
	v_mul_f32_e32 v1, 0x4f7ffffe, v1
	v_cvt_u32_f32_e32 v1, v1
	s_barrier
	v_readfirstlane_b32 s1, v1
	s_cbranch_scc1 .LBB17_10
; %bb.6:
	s_sub_i32 s6, 0, s0
	s_mul_i32 s6, s6, s1
	s_mul_hi_u32 s6, s1, s6
	s_abs_i32 s5, s17
	s_add_i32 s1, s1, s6
	s_ashr_i32 s2, s17, 31
	s_ashr_i32 s4, s18, 31
	s_mul_hi_u32 s1, s5, s1
	s_xor_b32 s2, s2, s4
	s_mul_i32 s4, s1, s0
	s_sub_i32 s4, s5, s4
	s_add_i32 s5, s1, 1
	s_sub_i32 s6, s4, s0
	s_cmp_ge_u32 s4, s0
	s_cselect_b32 s1, s5, s1
	s_cselect_b32 s4, s6, s4
	s_add_i32 s5, s1, 1
	s_cmp_ge_u32 s4, s0
	s_cselect_b32 s0, s5, s1
	s_xor_b32 s0, s0, s2
	s_sub_i32 s2, s0, s2
	v_cvt_f32_u32_e32 v1, s2
	s_bitcmp1_b32 s19, 0
	s_cselect_b64 s[0:1], -1, 0
	s_sub_i32 s4, 0, s2
	v_rcp_iflag_f32_e32 v1, v1
	s_xor_b64 s[0:1], s[0:1], -1
	v_ashrrev_i32_e32 v17, 31, v16
	v_lshrrev_b32_e32 v2, 29, v17
	v_mul_f32_e32 v1, 0x4f7ffffe, v1
	v_cvt_u32_f32_e32 v1, v1
	v_add_u32_e32 v2, v16, v2
	v_ashrrev_i32_e32 v27, 3, v2
	v_lshlrev_b32_e32 v0, 4, v0
	v_readfirstlane_b32 s5, v1
	s_mul_i32 s4, s4, s5
	s_mul_hi_u32 s4, s5, s4
	s_add_i32 s5, s5, s4
	s_mul_hi_u32 s4, s22, s5
	s_mul_i32 s5, s4, s2
	s_sub_i32 s5, s22, s5
	s_add_i32 s6, s4, 1
	s_sub_i32 s7, s5, s2
	s_cmp_ge_u32 s5, s2
	s_cselect_b32 s4, s6, s4
	s_cselect_b32 s5, s7, s5
	s_add_i32 s6, s4, 1
	s_cmp_ge_u32 s5, s2
	s_cselect_b32 s6, s6, s4
	s_mul_i32 s4, s6, s16
	s_ashr_i32 s5, s4, 31
	s_lshr_b32 s5, s5, 29
	s_add_i32 s5, s4, s5
	s_ashr_i32 s5, s5, 3
	v_add_u32_e32 v4, s5, v27
	v_add_u32_e32 v2, s4, v16
	v_ashrrev_i32_e32 v5, 31, v4
	v_ashrrev_i32_e32 v3, 31, v2
	v_lshl_add_u64 v[4:5], v[4:5], 2, s[10:11]
	v_lshl_add_u64 v[2:3], v[2:3], 1, s[12:13]
	global_load_dword v1, v[4:5], off
	v_and_b32_e32 v38, 16, v0
	global_load_dwordx2 v[2:3], v[2:3], off
	v_cndmask_b32_e64 v39, 0, 1, s[0:1]
	s_lshr_b32 s0, s22, 3
	s_mul_i32 s0, s16, s0
	s_mov_b32 s19, 0x10001
	v_mov_b32_e32 v36, 0xe400e400
	s_ashr_i32 s1, s0, 31
	s_lshl_b64 s[0:1], s[0:1], 2
	s_mov_b32 s18, 0xd400
	s_add_u32 s0, s8, s0
	v_mov_b32_e32 v18, 0
	s_addc_u32 s1, s9, s1
	s_ashr_i32 s17, s16, 31
	s_mov_b32 s7, 0
	s_movk_i32 s20, 0x2c00
	v_mov_b32_e32 v19, v18
	v_mov_b32_e32 v37, v18
	s_add_i32 s8, s2, s22
	v_lshl_add_u64 v[20:21], v[16:17], 2, s[0:1]
	s_lshl_b64 s[0:1], s[16:17], 4
	s_lshl_b64 s[4:5], s[16:17], 2
	v_mov_b32_e32 v40, v18
	s_waitcnt vmcnt(1)
	v_lshrrev_b32_e32 v0, v0, v1
	v_lshrrev_b32_e32 v1, 12, v0
	s_waitcnt vmcnt(0)
	v_cvt_f32_f16_e32 v41, v2
	v_cvt_f32_f16_sdwa v42, v2 dst_sel:DWORD dst_unused:UNUSED_PAD src0_sel:WORD_1
	v_cvt_f32_f16_e32 v22, v3
	v_cvt_f32_f16_sdwa v23, v3 dst_sel:DWORD dst_unused:UNUSED_PAD src0_sel:WORD_1
	v_lshrrev_b32_e32 v2, 8, v0
	v_lshrrev_b32_e32 v3, 4, v0
	v_and_b32_e32 v0, 15, v0
	v_and_b32_e32 v1, 15, v1
	;; [unrolled: 1-line block ×4, first 2 shown]
	v_add_u32_e32 v0, v0, v39
	v_add_u32_e32 v2, v2, v39
	;; [unrolled: 1-line block ×4, first 2 shown]
	v_cvt_f32_ubyte0_e32 v4, v0
	v_mad_u32_u24 v43, v0, s19, v36
	v_cvt_f32_ubyte0_e32 v0, v1
	v_cvt_f32_ubyte0_e32 v5, v2
	v_mad_u32_u24 v46, v1, s19, v36
	v_cvt_f32_ubyte0_e32 v1, v3
	v_cvt_pk_f16_f32 v0, v5, v0
	v_cvt_pk_f16_f32 v1, v4, v1
	v_pk_add_f16 v0, v0, s18 op_sel_hi:[1,0] neg_lo:[1,0] neg_hi:[1,0]
	v_pk_add_f16 v1, v1, s18 op_sel_hi:[1,0] neg_lo:[1,0] neg_hi:[1,0]
	v_mad_u32_u24 v44, v2, s19, v36
	v_mad_u32_u24 v45, v3, s19, v36
	v_mul_u32_u24_sdwa v26, v0, s19 dst_sel:DWORD dst_unused:UNUSED_PAD src0_sel:WORD_0 src1_sel:DWORD
	v_mul_u32_u24_sdwa v25, v0, s19 dst_sel:DWORD dst_unused:UNUSED_PAD src0_sel:WORD_1 src1_sel:DWORD
	v_mul_u32_u24_sdwa v24, v1, s19 dst_sel:DWORD dst_unused:UNUSED_PAD src0_sel:WORD_0 src1_sel:DWORD
	v_mul_u32_u24_sdwa v17, v1, s19 dst_sel:DWORD dst_unused:UNUSED_PAD src0_sel:WORD_1 src1_sel:DWORD
	s_branch .LBB17_8
.LBB17_7:                               ;   in Loop: Header=BB17_8 Depth=1
	global_load_dwordx4 v[12:15], v[20:21], off
	v_lshl_add_u64 v[0:1], v[20:21], 0, s[4:5]
	global_load_dwordx4 v[4:7], v[0:1], off
	v_mov_b32_e32 v47, s7
	v_lshl_add_u64 v[0:1], v[0:1], 0, s[4:5]
	ds_read2_b32 v[34:35], v47 offset1:1
	ds_read2_b32 v[32:33], v47 offset0:2 offset1:3
	ds_read2_b32 v[28:29], v47 offset0:4 offset1:5
	;; [unrolled: 1-line block ×3, first 2 shown]
	global_load_dwordx4 v[8:11], v[0:1], off
	v_lshl_add_u64 v[0:1], v[0:1], 0, s[4:5]
	global_load_dwordx4 v[0:3], v[0:1], off
	s_add_i32 s22, s22, 32
	s_add_i32 s7, s7, 64
	s_cmp_ge_i32 s22, s23
	v_lshl_add_u64 v[20:21], v[20:21], 0, s[0:1]
	s_waitcnt vmcnt(3)
	v_and_b32_e32 v48, 0xf000f, v12
	v_and_b32_e32 v50, 0xf000f, v13
	;; [unrolled: 1-line block ×3, first 2 shown]
	v_lshrrev_b32_e32 v12, 8, v12
	v_and_b32_e32 v51, 0xf000f0, v13
	v_lshrrev_b32_e32 v13, 8, v13
	v_and_b32_e32 v52, 0xf000f, v14
	v_and_b32_e32 v54, 0xf000f, v15
	v_or_b32_e32 v48, 0x64006400, v48
	v_or_b32_e32 v50, 0x64006400, v50
	v_and_b32_e32 v53, 0xf000f0, v14
	v_lshrrev_b32_e32 v14, 8, v14
	v_and_b32_e32 v55, 0xf000f0, v15
	v_lshrrev_b32_e32 v15, 8, v15
	v_or_b32_e32 v49, 0x64006400, v49
	v_and_b32_e32 v56, 0xf000f, v12
	v_or_b32_e32 v51, 0x64006400, v51
	v_and_b32_e32 v57, 0xf000f, v13
	v_or_b32_e32 v52, 0x64006400, v52
	v_or_b32_e32 v54, 0x64006400, v54
	v_pk_add_f16 v48, v43, v48
	v_pk_add_f16 v50, v45, v50
	v_and_b32_e32 v12, 0xf000f0, v12
	v_and_b32_e32 v13, 0xf000f0, v13
	v_or_b32_e32 v53, 0x64006400, v53
	v_and_b32_e32 v58, 0xf000f, v14
	v_or_b32_e32 v55, 0x64006400, v55
	;; [unrolled: 2-line block ×3, first 2 shown]
	v_pk_fma_f16 v49, v49, s20, v24 op_sel_hi:[1,0,1]
	v_or_b32_e32 v57, 0x64006400, v57
	v_pk_fma_f16 v51, v51, s20, v17 op_sel_hi:[1,0,1]
	v_pk_add_f16 v52, v44, v52
	v_pk_add_f16 v54, v46, v54
	s_waitcnt lgkmcnt(3)
	v_pk_fma_f16 v48, v48, v34, 0
	v_pk_fma_f16 v50, v50, v34, 0
	v_and_b32_e32 v14, 0xf000f0, v14
	v_and_b32_e32 v15, 0xf000f0, v15
	v_or_b32_e32 v12, 0x64006400, v12
	v_or_b32_e32 v13, 0x64006400, v13
	;; [unrolled: 1-line block ×3, first 2 shown]
	v_pk_fma_f16 v53, v53, s20, v26 op_sel_hi:[1,0,1]
	v_or_b32_e32 v59, 0x64006400, v59
	v_pk_fma_f16 v55, v55, s20, v25 op_sel_hi:[1,0,1]
	v_pk_add_f16 v56, v43, v56
	v_pk_add_f16 v57, v45, v57
	v_pk_fma_f16 v52, v52, v34, 0
	v_pk_fma_f16 v34, v54, v34, 0
	;; [unrolled: 1-line block ×4, first 2 shown]
	v_or_b32_e32 v14, 0x64006400, v14
	v_or_b32_e32 v15, 0x64006400, v15
	v_pk_fma_f16 v12, v12, s20, v24 op_sel_hi:[1,0,1]
	v_pk_fma_f16 v13, v13, s20, v17 op_sel_hi:[1,0,1]
	v_pk_add_f16 v58, v44, v58
	v_pk_add_f16 v59, v46, v59
	v_pk_fma_f16 v50, v53, v35, v52
	v_pk_fma_f16 v34, v55, v35, v34
	s_waitcnt lgkmcnt(2)
	v_pk_fma_f16 v35, v56, v32, v48
	v_pk_fma_f16 v48, v57, v32, v49
	v_pk_fma_f16 v14, v14, s20, v26 op_sel_hi:[1,0,1]
	v_pk_fma_f16 v15, v15, s20, v25 op_sel_hi:[1,0,1]
	v_pk_fma_f16 v49, v58, v32, v50
	v_pk_fma_f16 v32, v59, v32, v34
	;; [unrolled: 1-line block ×6, first 2 shown]
	v_cvt_f32_f16_e32 v33, v12
	v_cvt_f32_f16_sdwa v34, v12 dst_sel:DWORD dst_unused:UNUSED_PAD src0_sel:WORD_1
	v_cvt_f32_f16_e32 v35, v13
	v_cvt_f32_f16_sdwa v48, v13 dst_sel:DWORD dst_unused:UNUSED_PAD src0_sel:WORD_1
	s_waitcnt vmcnt(2)
	v_and_b32_e32 v60, 0xf000f, v4
	v_cvt_f32_f16_sdwa v15, v32 dst_sel:DWORD dst_unused:UNUSED_PAD src0_sel:WORD_1
	v_cvt_f32_f16_e32 v13, v32
	v_add_f32_e32 v32, v34, v33
	v_add_f32_e32 v33, v48, v35
	v_fmac_f32_e32 v37, v32, v41
	v_fmac_f32_e32 v40, v33, v42
	v_or_b32_e32 v32, 0x64006400, v60
	v_and_b32_e32 v33, 0xf000f0, v4
	v_lshrrev_b32_e32 v4, 8, v4
	v_or_b32_e32 v33, 0x64006400, v33
	v_and_b32_e32 v34, 0xf000f, v4
	v_pk_add_f16 v32, v43, v32
	v_or_b32_e32 v34, 0x64006400, v34
	v_and_b32_e32 v4, 0xf000f0, v4
	v_pk_fma_f16 v33, v33, s20, v24 op_sel_hi:[1,0,1]
	v_and_b32_e32 v35, 0xf000f, v5
	s_waitcnt lgkmcnt(1)
	v_pk_fma_f16 v32, v32, v28, 0
	v_or_b32_e32 v4, 0x64006400, v4
	v_pk_add_f16 v34, v43, v34
	v_or_b32_e32 v35, 0x64006400, v35
	v_and_b32_e32 v48, 0xf000f0, v5
	v_lshrrev_b32_e32 v5, 8, v5
	v_pk_fma_f16 v32, v33, v29, v32
	v_pk_fma_f16 v4, v4, s20, v24 op_sel_hi:[1,0,1]
	v_or_b32_e32 v48, 0x64006400, v48
	v_and_b32_e32 v49, 0xf000f, v5
	v_pk_add_f16 v35, v45, v35
	s_waitcnt lgkmcnt(0)
	v_pk_fma_f16 v32, v34, v30, v32
	v_or_b32_e32 v49, 0x64006400, v49
	v_and_b32_e32 v5, 0xf000f0, v5
	v_pk_fma_f16 v48, v48, s20, v17 op_sel_hi:[1,0,1]
	v_pk_fma_f16 v4, v4, v31, v32
	v_pk_fma_f16 v33, v35, v28, 0
	v_or_b32_e32 v5, 0x64006400, v5
	v_pk_add_f16 v49, v45, v49
	v_cvt_f32_f16_e32 v32, v4
	v_cvt_f32_f16_sdwa v4, v4 dst_sel:DWORD dst_unused:UNUSED_PAD src0_sel:WORD_1
	v_pk_fma_f16 v33, v48, v29, v33
	v_pk_fma_f16 v5, v5, s20, v17 op_sel_hi:[1,0,1]
	v_and_b32_e32 v50, 0xf000f, v6
	v_pk_fma_f16 v33, v49, v30, v33
	v_or_b32_e32 v50, 0x64006400, v50
	v_and_b32_e32 v51, 0xf000f0, v6
	v_lshrrev_b32_e32 v6, 8, v6
	v_pk_fma_f16 v5, v5, v31, v33
	v_or_b32_e32 v51, 0x64006400, v51
	v_and_b32_e32 v52, 0xf000f, v6
	v_pk_add_f16 v50, v44, v50
	v_cvt_f32_f16_e32 v33, v5
	v_cvt_f32_f16_sdwa v5, v5 dst_sel:DWORD dst_unused:UNUSED_PAD src0_sel:WORD_1
	v_or_b32_e32 v52, 0x64006400, v52
	v_and_b32_e32 v6, 0xf000f0, v6
	v_pk_fma_f16 v51, v51, s20, v26 op_sel_hi:[1,0,1]
	v_add_f32_e32 v32, v4, v32
	v_pk_fma_f16 v4, v50, v28, 0
	v_or_b32_e32 v6, 0x64006400, v6
	v_pk_add_f16 v52, v44, v52
	v_and_b32_e32 v53, 0xf000f, v7
	v_pk_fma_f16 v4, v51, v29, v4
	v_pk_fma_f16 v6, v6, s20, v26 op_sel_hi:[1,0,1]
	v_or_b32_e32 v53, 0x64006400, v53
	v_and_b32_e32 v54, 0xf000f0, v7
	v_lshrrev_b32_e32 v7, 8, v7
	v_pk_fma_f16 v4, v52, v30, v4
	v_or_b32_e32 v54, 0x64006400, v54
	v_and_b32_e32 v55, 0xf000f, v7
	v_pk_add_f16 v53, v46, v53
	v_add_f32_e32 v33, v5, v33
	v_pk_fma_f16 v5, v6, v31, v4
	v_or_b32_e32 v55, 0x64006400, v55
	v_pk_fma_f16 v54, v54, s20, v25 op_sel_hi:[1,0,1]
	v_cvt_f32_f16_e32 v4, v5
	v_cvt_f32_f16_sdwa v6, v5 dst_sel:DWORD dst_unused:UNUSED_PAD src0_sel:WORD_1
	v_pk_fma_f16 v5, v53, v28, 0
	v_pk_add_f16 v34, v46, v55
	v_pk_fma_f16 v5, v54, v29, v5
	s_waitcnt vmcnt(1)
	v_and_b32_e32 v28, 0xf000f, v8
	v_and_b32_e32 v29, 0xf000f0, v8
	v_lshrrev_b32_e32 v8, 8, v8
	v_pk_fma_f16 v5, v34, v30, v5
	v_and_b32_e32 v30, 0xf000f, v8
	v_and_b32_e32 v8, 0xf000f0, v8
	v_or_b32_e32 v28, 0x64006400, v28
	v_or_b32_e32 v8, 0x64006400, v8
	v_fmac_f32_e32 v37, v32, v41
	v_or_b32_e32 v29, 0x64006400, v29
	v_pk_add_f16 v32, v43, v28
	v_pk_fma_f16 v35, v8, s20, v24 op_sel_hi:[1,0,1]
	v_and_b32_e32 v8, 0xf000f, v9
	v_and_b32_e32 v28, 0xf000f0, v9
	v_lshrrev_b32_e32 v9, 8, v9
	v_fmac_f32_e32 v40, v33, v42
	v_pk_fma_f16 v33, v29, s20, v24 op_sel_hi:[1,0,1]
	v_and_b32_e32 v29, 0xf000f, v9
	v_and_b32_e32 v9, 0xf000f0, v9
	v_or_b32_e32 v8, 0x64006400, v8
	v_or_b32_e32 v9, 0x64006400, v9
	;; [unrolled: 1-line block ×3, first 2 shown]
	v_pk_add_f16 v48, v45, v8
	v_pk_fma_f16 v51, v9, s20, v17 op_sel_hi:[1,0,1]
	v_and_b32_e32 v8, 0xf000f, v10
	v_and_b32_e32 v9, 0xf000f0, v10
	v_lshrrev_b32_e32 v10, 8, v10
	v_pk_fma_f16 v49, v28, s20, v17 op_sel_hi:[1,0,1]
	v_or_b32_e32 v9, 0x64006400, v9
	v_and_b32_e32 v28, 0xf000f, v10
	v_and_b32_e32 v10, 0xf000f0, v10
	v_or_b32_e32 v8, 0x64006400, v8
	v_or_b32_e32 v10, 0x64006400, v10
	v_pk_fma_f16 v53, v9, s20, v26 op_sel_hi:[1,0,1]
	v_and_b32_e32 v9, 0xf000f0, v11
	v_pk_add_f16 v52, v44, v8
	v_pk_fma_f16 v55, v10, s20, v26 op_sel_hi:[1,0,1]
	v_and_b32_e32 v8, 0xf000f, v11
	v_or_b32_e32 v10, 0x64006400, v9
	v_lshrrev_b32_e32 v9, 8, v11
	v_or_b32_e32 v8, 0x64006400, v8
	v_and_b32_e32 v11, 0xf000f, v9
	v_and_b32_e32 v9, 0xf000f0, v9
	v_or_b32_e32 v57, 0x64006400, v9
	v_pk_add_f16 v58, v46, v8
	ds_read2_b32 v[8:9], v47 offset0:8 offset1:9
	v_and_b32_e32 v7, 0xf000f0, v7
	v_or_b32_e32 v7, 0x64006400, v7
	v_pk_fma_f16 v7, v7, s20, v25 op_sel_hi:[1,0,1]
	v_or_b32_e32 v30, 0x64006400, v30
	v_or_b32_e32 v29, 0x64006400, v29
	;; [unrolled: 1-line block ×3, first 2 shown]
	v_pk_fma_f16 v5, v7, v31, v5
	v_pk_add_f16 v34, v43, v30
	v_pk_add_f16 v50, v45, v29
	;; [unrolled: 1-line block ×3, first 2 shown]
	v_or_b32_e32 v56, 0x64006400, v11
	v_pk_fma_f16 v59, v10, s20, v25 op_sel_hi:[1,0,1]
	ds_read2_b32 v[10:11], v47 offset0:10 offset1:11
	ds_read2_b32 v[28:29], v47 offset0:12 offset1:13
	;; [unrolled: 1-line block ×3, first 2 shown]
	s_waitcnt lgkmcnt(3)
	v_pk_fma_f16 v32, v32, v8, 0
	v_pk_add_f16 v47, v46, v56
	v_pk_fma_f16 v32, v33, v9, v32
	v_cvt_f32_f16_e32 v12, v14
	s_waitcnt lgkmcnt(2)
	v_pk_fma_f16 v32, v34, v10, v32
	v_pk_fma_f16 v34, v48, v8, 0
	;; [unrolled: 1-line block ×4, first 2 shown]
	v_cvt_f32_f16_e32 v33, v32
	v_cvt_f32_f16_sdwa v32, v32 dst_sel:DWORD dst_unused:UNUSED_PAD src0_sel:WORD_1
	v_pk_fma_f16 v34, v50, v10, v34
	v_pk_fma_f16 v48, v57, s20, v25 op_sel_hi:[1,0,1]
	v_pk_fma_f16 v34, v51, v11, v34
	v_add_f32_e32 v49, v32, v33
	v_cvt_f32_f16_e32 v35, v34
	v_cvt_f32_f16_sdwa v34, v34 dst_sel:DWORD dst_unused:UNUSED_PAD src0_sel:WORD_1
	v_pk_fma_f16 v32, v52, v8, 0
	v_pk_fma_f16 v8, v58, v8, 0
	;; [unrolled: 1-line block ×8, first 2 shown]
	v_add_f32_e32 v50, v34, v35
	v_cvt_f32_f16_e32 v32, v33
	v_cvt_f32_f16_sdwa v34, v33 dst_sel:DWORD dst_unused:UNUSED_PAD src0_sel:WORD_1
	v_cvt_f32_f16_sdwa v35, v8 dst_sel:DWORD dst_unused:UNUSED_PAD src0_sel:WORD_1
	v_cvt_f32_f16_e32 v33, v8
	s_waitcnt vmcnt(0)
	v_and_b32_e32 v8, 0xf000f, v0
	v_or_b32_e32 v8, 0x64006400, v8
	v_and_b32_e32 v9, 0xf000f0, v0
	v_lshrrev_b32_e32 v0, 8, v0
	v_or_b32_e32 v9, 0x64006400, v9
	v_and_b32_e32 v10, 0xf000f, v0
	v_pk_add_f16 v8, v43, v8
	v_or_b32_e32 v10, 0x64006400, v10
	v_and_b32_e32 v0, 0xf000f0, v0
	v_pk_fma_f16 v9, v9, s20, v24 op_sel_hi:[1,0,1]
	v_and_b32_e32 v11, 0xf000f, v1
	s_waitcnt lgkmcnt(1)
	v_pk_fma_f16 v8, v8, v28, 0
	v_or_b32_e32 v0, 0x64006400, v0
	v_pk_add_f16 v10, v43, v10
	v_or_b32_e32 v11, 0x64006400, v11
	v_and_b32_e32 v47, 0xf000f0, v1
	v_lshrrev_b32_e32 v1, 8, v1
	v_pk_fma_f16 v8, v9, v29, v8
	v_pk_fma_f16 v0, v0, s20, v24 op_sel_hi:[1,0,1]
	v_or_b32_e32 v47, 0x64006400, v47
	v_and_b32_e32 v48, 0xf000f, v1
	v_pk_add_f16 v11, v45, v11
	s_waitcnt lgkmcnt(0)
	v_pk_fma_f16 v8, v10, v30, v8
	v_or_b32_e32 v48, 0x64006400, v48
	v_and_b32_e32 v1, 0xf000f0, v1
	v_pk_fma_f16 v47, v47, s20, v17 op_sel_hi:[1,0,1]
	v_pk_fma_f16 v0, v0, v31, v8
	v_pk_fma_f16 v9, v11, v28, 0
	v_or_b32_e32 v1, 0x64006400, v1
	v_pk_add_f16 v48, v45, v48
	v_cvt_f32_f16_e32 v8, v0
	v_cvt_f32_f16_sdwa v0, v0 dst_sel:DWORD dst_unused:UNUSED_PAD src0_sel:WORD_1
	v_pk_fma_f16 v9, v47, v29, v9
	v_fmac_f32_e32 v37, v49, v41
	v_pk_fma_f16 v1, v1, s20, v17 op_sel_hi:[1,0,1]
	v_and_b32_e32 v49, 0xf000f, v2
	v_pk_fma_f16 v9, v48, v30, v9
	v_fmac_f32_e32 v40, v50, v42
	v_or_b32_e32 v49, 0x64006400, v49
	v_and_b32_e32 v50, 0xf000f0, v2
	v_lshrrev_b32_e32 v2, 8, v2
	v_pk_fma_f16 v1, v1, v31, v9
	v_or_b32_e32 v50, 0x64006400, v50
	v_and_b32_e32 v51, 0xf000f, v2
	v_pk_add_f16 v49, v44, v49
	v_cvt_f32_f16_e32 v9, v1
	v_cvt_f32_f16_sdwa v1, v1 dst_sel:DWORD dst_unused:UNUSED_PAD src0_sel:WORD_1
	v_or_b32_e32 v51, 0x64006400, v51
	v_and_b32_e32 v2, 0xf000f0, v2
	v_pk_fma_f16 v50, v50, s20, v26 op_sel_hi:[1,0,1]
	v_add_f32_e32 v8, v0, v8
	v_pk_fma_f16 v0, v49, v28, 0
	v_or_b32_e32 v2, 0x64006400, v2
	v_pk_add_f16 v51, v44, v51
	v_and_b32_e32 v52, 0xf000f, v3
	v_pk_fma_f16 v0, v50, v29, v0
	v_pk_fma_f16 v2, v2, s20, v26 op_sel_hi:[1,0,1]
	v_or_b32_e32 v52, 0x64006400, v52
	v_and_b32_e32 v53, 0xf000f0, v3
	v_lshrrev_b32_e32 v3, 8, v3
	v_pk_fma_f16 v0, v51, v30, v0
	v_or_b32_e32 v53, 0x64006400, v53
	v_and_b32_e32 v54, 0xf000f, v3
	v_pk_add_f16 v52, v46, v52
	v_add_f32_e32 v9, v1, v9
	v_pk_fma_f16 v1, v2, v31, v0
	v_or_b32_e32 v54, 0x64006400, v54
	v_and_b32_e32 v3, 0xf000f0, v3
	v_pk_fma_f16 v53, v53, s20, v25 op_sel_hi:[1,0,1]
	v_cvt_f32_f16_e32 v0, v1
	v_cvt_f32_f16_sdwa v2, v1 dst_sel:DWORD dst_unused:UNUSED_PAD src0_sel:WORD_1
	v_pk_fma_f16 v1, v52, v28, 0
	v_cvt_f32_f16_sdwa v14, v14 dst_sel:DWORD dst_unused:UNUSED_PAD src0_sel:WORD_1
	v_or_b32_e32 v3, 0x64006400, v3
	v_pk_add_f16 v10, v46, v54
	v_pk_fma_f16 v1, v53, v29, v1
	v_cvt_f32_f16_sdwa v7, v5 dst_sel:DWORD dst_unused:UNUSED_PAD src0_sel:WORD_1
	v_cvt_f32_f16_e32 v5, v5
	v_pk_fma_f16 v3, v3, s20, v25 op_sel_hi:[1,0,1]
	v_pk_fma_f16 v1, v10, v30, v1
	v_fmac_f32_e32 v37, v8, v41
	v_pk_fma_f16 v1, v3, v31, v1
	v_fmac_f32_e32 v40, v9, v42
	v_cvt_f32_f16_sdwa v3, v1 dst_sel:DWORD dst_unused:UNUSED_PAD src0_sel:WORD_1
	v_cvt_f32_f16_e32 v1, v1
	v_pk_add_f32 v[8:9], v[12:13], v[14:15]
	v_pk_add_f32 v[4:5], v[4:5], v[6:7]
	v_pk_fma_f32 v[8:9], v[8:9], v[22:23], v[18:19]
	v_pk_add_f32 v[6:7], v[32:33], v[34:35]
	v_pk_fma_f32 v[4:5], v[4:5], v[22:23], v[8:9]
	;; [unrolled: 2-line block ×3, first 2 shown]
	s_nop 0
	v_pk_fma_f32 v[18:19], v[0:1], v[22:23], v[4:5]
	s_cbranch_scc1 .LBB17_10
.LBB17_8:                               ; =>This Inner Loop Header: Depth=1
	s_cmp_lg_u32 s22, s8
	s_cbranch_scc1 .LBB17_7
; %bb.9:                                ;   in Loop: Header=BB17_8 Depth=1
	s_add_i32 s6, s6, 1
	s_mul_i32 s9, s6, s16
	s_ashr_i32 s17, s9, 31
	s_lshr_b32 s17, s17, 29
	s_add_i32 s17, s9, s17
	s_ashr_i32 s17, s17, 3
	v_add_u32_e32 v0, s9, v16
	v_add_u32_e32 v2, s17, v27
	v_ashrrev_i32_e32 v1, 31, v0
	v_ashrrev_i32_e32 v3, 31, v2
	v_lshl_add_u64 v[0:1], v[0:1], 1, s[12:13]
	v_lshl_add_u64 v[2:3], v[2:3], 2, s[10:11]
	global_load_dwordx2 v[0:1], v[0:1], off
	s_add_i32 s8, s8, s2
	global_load_dword v2, v[2:3], off
	s_waitcnt vmcnt(1)
	v_cvt_f32_f16_e32 v41, v0
	v_cvt_f32_f16_sdwa v42, v0 dst_sel:DWORD dst_unused:UNUSED_PAD src0_sel:WORD_1
	s_waitcnt vmcnt(0)
	v_lshrrev_b32_e32 v0, v38, v2
	v_cvt_f32_f16_e32 v22, v1
	v_cvt_f32_f16_sdwa v23, v1 dst_sel:DWORD dst_unused:UNUSED_PAD src0_sel:WORD_1
	v_lshrrev_b32_e32 v1, 4, v0
	v_and_b32_e32 v2, 15, v0
	v_lshrrev_b32_e32 v3, 12, v0
	v_lshrrev_b32_e32 v0, 8, v0
	v_and_b32_e32 v1, 15, v1
	v_and_b32_e32 v3, 15, v3
	;; [unrolled: 1-line block ×3, first 2 shown]
	v_add_u32_e32 v2, v2, v39
	v_add_u32_e32 v1, v1, v39
	;; [unrolled: 1-line block ×4, first 2 shown]
	v_mad_u32_u24 v43, v2, s19, v36
	v_cvt_f32_ubyte0_e32 v2, v2
	v_cvt_f32_ubyte0_e32 v4, v1
	v_mad_u32_u24 v45, v1, s19, v36
	v_mad_u32_u24 v44, v0, s19, v36
	v_cvt_f32_ubyte0_e32 v1, v3
	v_cvt_f32_ubyte0_e32 v0, v0
	v_cvt_pk_f16_f32 v2, v2, v4
	v_cvt_pk_f16_f32 v0, v0, v1
	v_pk_add_f16 v1, v2, s18 op_sel_hi:[1,0] neg_lo:[1,0] neg_hi:[1,0]
	v_pk_add_f16 v0, v0, s18 op_sel_hi:[1,0] neg_lo:[1,0] neg_hi:[1,0]
	v_mad_u32_u24 v46, v3, s19, v36
	v_mul_u32_u24_sdwa v24, v1, s19 dst_sel:DWORD dst_unused:UNUSED_PAD src0_sel:WORD_0 src1_sel:DWORD
	v_mul_u32_u24_sdwa v17, v1, s19 dst_sel:DWORD dst_unused:UNUSED_PAD src0_sel:WORD_1 src1_sel:DWORD
	v_mul_u32_u24_sdwa v26, v0, s19 dst_sel:DWORD dst_unused:UNUSED_PAD src0_sel:WORD_0 src1_sel:DWORD
	v_mul_u32_u24_sdwa v25, v0, s19 dst_sel:DWORD dst_unused:UNUSED_PAD src0_sel:WORD_1 src1_sel:DWORD
	s_branch .LBB17_7
.LBB17_10:
	s_mul_i32 s0, s16, s3
	v_add_u32_e32 v0, s0, v16
	v_ashrrev_i32_e32 v1, 31, v0
	v_lshl_add_u64 v[0:1], v[0:1], 1, s[14:15]
	global_load_dword v3, v[0:1], off
	v_cvt_pk_f16_f32 v4, v37, v40
	s_mov_b64 s[0:1], 0
.LBB17_11:                              ; =>This Inner Loop Header: Depth=1
	s_waitcnt vmcnt(0)
	v_pk_add_f16 v2, v4, v3
	global_atomic_cmpswap v2, v[0:1], v[2:3], off sc0
	s_waitcnt vmcnt(0)
	v_cmp_eq_u32_e32 vcc, v3, v2
	s_or_b64 s[0:1], vcc, s[0:1]
	v_mov_b32_e32 v3, v2
	s_andn2_b64 exec, exec, s[0:1]
	s_cbranch_execnz .LBB17_11
; %bb.12:
	s_or_b64 exec, exec, s[0:1]
	global_load_dword v3, v[0:1], off offset:4
	v_cvt_pk_f16_f32 v4, v18, v19
	s_mov_b64 s[0:1], 0
.LBB17_13:                              ; =>This Inner Loop Header: Depth=1
	s_waitcnt vmcnt(0)
	v_pk_add_f16 v2, v4, v3
	global_atomic_cmpswap v2, v[0:1], v[2:3], off offset:4 sc0
	s_waitcnt vmcnt(0)
	v_cmp_eq_u32_e32 vcc, v3, v2
	s_or_b64 s[0:1], vcc, s[0:1]
	v_mov_b32_e32 v3, v2
	s_andn2_b64 exec, exec, s[0:1]
	s_cbranch_execnz .LBB17_13
.LBB17_14:
	s_endpgm
	.section	.rodata,"a",@progbits
	.p2align	6, 0x0
	.amdhsa_kernel _ZN4vllm4gptq33gemm_half_q_half_gptq_4bit_kernelILb1ELi1EEEvPK6__halfPKjS6_S4_PS2_iiiibPKi
		.amdhsa_group_segment_fixed_size 256
		.amdhsa_private_segment_fixed_size 0
		.amdhsa_kernarg_size 72
		.amdhsa_user_sgpr_count 2
		.amdhsa_user_sgpr_dispatch_ptr 0
		.amdhsa_user_sgpr_queue_ptr 0
		.amdhsa_user_sgpr_kernarg_segment_ptr 1
		.amdhsa_user_sgpr_dispatch_id 0
		.amdhsa_user_sgpr_kernarg_preload_length 0
		.amdhsa_user_sgpr_kernarg_preload_offset 0
		.amdhsa_user_sgpr_private_segment_size 0
		.amdhsa_uses_dynamic_stack 0
		.amdhsa_enable_private_segment 0
		.amdhsa_system_sgpr_workgroup_id_x 1
		.amdhsa_system_sgpr_workgroup_id_y 1
		.amdhsa_system_sgpr_workgroup_id_z 1
		.amdhsa_system_sgpr_workgroup_info 0
		.amdhsa_system_vgpr_workitem_id 0
		.amdhsa_next_free_vgpr 61
		.amdhsa_next_free_sgpr 24
		.amdhsa_accum_offset 64
		.amdhsa_reserve_vcc 1
		.amdhsa_float_round_mode_32 0
		.amdhsa_float_round_mode_16_64 0
		.amdhsa_float_denorm_mode_32 3
		.amdhsa_float_denorm_mode_16_64 3
		.amdhsa_dx10_clamp 1
		.amdhsa_ieee_mode 1
		.amdhsa_fp16_overflow 0
		.amdhsa_tg_split 0
		.amdhsa_exception_fp_ieee_invalid_op 0
		.amdhsa_exception_fp_denorm_src 0
		.amdhsa_exception_fp_ieee_div_zero 0
		.amdhsa_exception_fp_ieee_overflow 0
		.amdhsa_exception_fp_ieee_underflow 0
		.amdhsa_exception_fp_ieee_inexact 0
		.amdhsa_exception_int_div_zero 0
	.end_amdhsa_kernel
	.section	.text._ZN4vllm4gptq33gemm_half_q_half_gptq_4bit_kernelILb1ELi1EEEvPK6__halfPKjS6_S4_PS2_iiiibPKi,"axG",@progbits,_ZN4vllm4gptq33gemm_half_q_half_gptq_4bit_kernelILb1ELi1EEEvPK6__halfPKjS6_S4_PS2_iiiibPKi,comdat
.Lfunc_end17:
	.size	_ZN4vllm4gptq33gemm_half_q_half_gptq_4bit_kernelILb1ELi1EEEvPK6__halfPKjS6_S4_PS2_iiiibPKi, .Lfunc_end17-_ZN4vllm4gptq33gemm_half_q_half_gptq_4bit_kernelILb1ELi1EEEvPK6__halfPKjS6_S4_PS2_iiiibPKi
                                        ; -- End function
	.set _ZN4vllm4gptq33gemm_half_q_half_gptq_4bit_kernelILb1ELi1EEEvPK6__halfPKjS6_S4_PS2_iiiibPKi.num_vgpr, 61
	.set _ZN4vllm4gptq33gemm_half_q_half_gptq_4bit_kernelILb1ELi1EEEvPK6__halfPKjS6_S4_PS2_iiiibPKi.num_agpr, 0
	.set _ZN4vllm4gptq33gemm_half_q_half_gptq_4bit_kernelILb1ELi1EEEvPK6__halfPKjS6_S4_PS2_iiiibPKi.numbered_sgpr, 24
	.set _ZN4vllm4gptq33gemm_half_q_half_gptq_4bit_kernelILb1ELi1EEEvPK6__halfPKjS6_S4_PS2_iiiibPKi.num_named_barrier, 0
	.set _ZN4vllm4gptq33gemm_half_q_half_gptq_4bit_kernelILb1ELi1EEEvPK6__halfPKjS6_S4_PS2_iiiibPKi.private_seg_size, 0
	.set _ZN4vllm4gptq33gemm_half_q_half_gptq_4bit_kernelILb1ELi1EEEvPK6__halfPKjS6_S4_PS2_iiiibPKi.uses_vcc, 1
	.set _ZN4vllm4gptq33gemm_half_q_half_gptq_4bit_kernelILb1ELi1EEEvPK6__halfPKjS6_S4_PS2_iiiibPKi.uses_flat_scratch, 0
	.set _ZN4vllm4gptq33gemm_half_q_half_gptq_4bit_kernelILb1ELi1EEEvPK6__halfPKjS6_S4_PS2_iiiibPKi.has_dyn_sized_stack, 0
	.set _ZN4vllm4gptq33gemm_half_q_half_gptq_4bit_kernelILb1ELi1EEEvPK6__halfPKjS6_S4_PS2_iiiibPKi.has_recursion, 0
	.set _ZN4vllm4gptq33gemm_half_q_half_gptq_4bit_kernelILb1ELi1EEEvPK6__halfPKjS6_S4_PS2_iiiibPKi.has_indirect_call, 0
	.section	.AMDGPU.csdata,"",@progbits
; Kernel info:
; codeLenInByte = 3908
; TotalNumSgprs: 30
; NumVgprs: 61
; NumAgprs: 0
; TotalNumVgprs: 61
; ScratchSize: 0
; MemoryBound: 0
; FloatMode: 240
; IeeeMode: 1
; LDSByteSize: 256 bytes/workgroup (compile time only)
; SGPRBlocks: 3
; VGPRBlocks: 7
; NumSGPRsForWavesPerEU: 30
; NumVGPRsForWavesPerEU: 61
; AccumOffset: 64
; Occupancy: 8
; WaveLimiterHint : 0
; COMPUTE_PGM_RSRC2:SCRATCH_EN: 0
; COMPUTE_PGM_RSRC2:USER_SGPR: 2
; COMPUTE_PGM_RSRC2:TRAP_HANDLER: 0
; COMPUTE_PGM_RSRC2:TGID_X_EN: 1
; COMPUTE_PGM_RSRC2:TGID_Y_EN: 1
; COMPUTE_PGM_RSRC2:TGID_Z_EN: 1
; COMPUTE_PGM_RSRC2:TIDIG_COMP_CNT: 0
; COMPUTE_PGM_RSRC3_GFX90A:ACCUM_OFFSET: 15
; COMPUTE_PGM_RSRC3_GFX90A:TG_SPLIT: 0
	.section	.text._ZN4vllm4gptq33gemm_half_q_half_gptq_8bit_kernelILb1ELi1EEEvPK6__halfPKjS6_S4_PS2_iiiibPKi,"axG",@progbits,_ZN4vllm4gptq33gemm_half_q_half_gptq_8bit_kernelILb1ELi1EEEvPK6__halfPKjS6_S4_PS2_iiiibPKi,comdat
	.protected	_ZN4vllm4gptq33gemm_half_q_half_gptq_8bit_kernelILb1ELi1EEEvPK6__halfPKjS6_S4_PS2_iiiibPKi ; -- Begin function _ZN4vllm4gptq33gemm_half_q_half_gptq_8bit_kernelILb1ELi1EEEvPK6__halfPKjS6_S4_PS2_iiiibPKi
	.globl	_ZN4vllm4gptq33gemm_half_q_half_gptq_8bit_kernelILb1ELi1EEEvPK6__halfPKjS6_S4_PS2_iiiibPKi
	.p2align	8
	.type	_ZN4vllm4gptq33gemm_half_q_half_gptq_8bit_kernelILb1ELi1EEEvPK6__halfPKjS6_S4_PS2_iiiibPKi,@function
_ZN4vllm4gptq33gemm_half_q_half_gptq_8bit_kernelILb1ELi1EEEvPK6__halfPKjS6_S4_PS2_iiiibPKi: ; @_ZN4vllm4gptq33gemm_half_q_half_gptq_8bit_kernelILb1ELi1EEEvPK6__halfPKjS6_S4_PS2_iiiibPKi
; %bb.0:
	s_load_dwordx4 s[16:19], s[0:1], 0x2c
	s_load_dwordx8 s[8:15], s[0:1], 0x8
	s_lshl_b32 s22, s4, 7
	s_add_i32 s4, s22, 0x80
	v_cvt_f64_u32_e32 v[2:3], s4
	s_waitcnt lgkmcnt(0)
	v_cvt_f64_i32_e32 v[4:5], s17
	v_min_f64 v[2:3], v[2:3], v[4:5]
	v_cvt_i32_f64_e32 v1, v[2:3]
	v_add_u32_e32 v2, s22, v0
	v_readfirstlane_b32 s23, v1
	v_cmp_lt_u32_e32 vcc, v2, v1
	s_and_saveexec_b64 s[4:5], vcc
	s_cbranch_execz .LBB18_4
; %bb.1:
	s_load_dwordx2 s[20:21], s[0:1], 0x40
	s_load_dwordx2 s[6:7], s[0:1], 0x0
	v_mov_b32_e32 v3, 0
	s_waitcnt lgkmcnt(0)
	s_cmp_eq_u64 s[20:21], 0
	s_cbranch_scc1 .LBB18_3
; %bb.2:
	v_lshl_add_u64 v[2:3], v[2:3], 2, s[20:21]
	global_load_dword v2, v[2:3], off
	s_waitcnt vmcnt(0)
	v_ashrrev_i32_e32 v3, 31, v2
.LBB18_3:
	s_mul_i32 s0, s17, s3
	s_ashr_i32 s1, s0, 31
	s_lshl_b64 s[0:1], s[0:1], 1
	s_add_u32 s0, s6, s0
	s_addc_u32 s1, s7, s1
	v_lshl_add_u64 v[2:3], v[2:3], 1, s[0:1]
	global_load_ushort v1, v[2:3], off
	v_lshlrev_b32_e32 v2, 1, v0
	s_waitcnt vmcnt(0)
	ds_write_b16 v2, v1
.LBB18_4:
	s_or_b64 exec, exec, s[4:5]
	v_lshlrev_b32_e32 v0, 2, v0
	v_lshl_add_u32 v16, s2, 9, v0
	v_cmp_gt_i32_e32 vcc, s16, v16
	s_and_saveexec_b64 s[0:1], vcc
	s_cbranch_execz .LBB18_16
; %bb.5:
	s_abs_i32 s0, s18
	v_cvt_f32_u32_e32 v0, s0
	s_cmp_ge_i32 s22, s23
	s_mov_b32 s2, 0
	s_waitcnt lgkmcnt(0)
	v_rcp_iflag_f32_e32 v0, v0
	s_barrier
	v_mul_f32_e32 v0, 0x4f7ffffe, v0
	v_cvt_u32_f32_e32 v0, v0
	s_nop 0
	v_readfirstlane_b32 s1, v0
	s_cbranch_scc1 .LBB18_10
; %bb.6:
	s_sub_i32 s7, 0, s0
	s_mul_i32 s7, s7, s1
	s_mul_hi_u32 s7, s1, s7
	s_abs_i32 s6, s17
	s_add_i32 s1, s1, s7
	s_ashr_i32 s4, s17, 31
	s_ashr_i32 s5, s18, 31
	s_mul_hi_u32 s1, s6, s1
	s_xor_b32 s4, s4, s5
	s_mul_i32 s5, s1, s0
	s_sub_i32 s5, s6, s5
	s_add_i32 s6, s1, 1
	s_sub_i32 s7, s5, s0
	s_cmp_ge_u32 s5, s0
	s_cselect_b32 s1, s6, s1
	s_cselect_b32 s5, s7, s5
	s_add_i32 s6, s1, 1
	s_cmp_ge_u32 s5, s0
	s_cselect_b32 s0, s6, s1
	s_xor_b32 s0, s0, s4
	s_sub_i32 s6, s0, s4
	v_cvt_f32_u32_e32 v0, s6
	s_bitcmp1_b32 s19, 0
	s_cselect_b64 s[0:1], -1, 0
	s_sub_i32 s4, 0, s6
	v_rcp_iflag_f32_e32 v0, v0
	s_xor_b64 s[0:1], s[0:1], -1
	v_ashrrev_i32_e32 v24, 2, v16
	v_cndmask_b32_e64 v25, 0, 1, s[0:1]
	v_mul_f32_e32 v0, 0x4f7ffffe, v0
	v_cvt_u32_f32_e32 v0, v0
	v_ashrrev_i32_e32 v17, 31, v16
	v_mov_b32_e32 v35, 0
	v_mov_b32_e32 v34, 0
	v_readfirstlane_b32 s5, v0
	s_mul_i32 s4, s4, s5
	s_mul_hi_u32 s4, s5, s4
	s_add_i32 s5, s5, s4
	s_mul_hi_u32 s4, s22, s5
	s_mul_i32 s5, s4, s6
	s_sub_i32 s5, s22, s5
	s_add_i32 s7, s4, 1
	s_sub_i32 s17, s5, s6
	s_cmp_ge_u32 s5, s6
	s_cselect_b32 s4, s7, s4
	s_cselect_b32 s5, s17, s5
	s_add_i32 s7, s4, 1
	s_cmp_ge_u32 s5, s6
	s_cselect_b32 s7, s7, s4
	s_mul_i32 s4, s7, s16
	s_ashr_i32 s5, s4, 31
	s_lshr_b32 s5, s5, 30
	s_add_i32 s5, s4, s5
	s_ashr_i32 s5, s5, 2
	v_add_u32_e32 v0, s5, v24
	v_ashrrev_i32_e32 v1, 31, v0
	v_lshl_add_u64 v[0:1], v[0:1], 2, s[10:11]
	global_load_dword v2, v[0:1], off
	v_add_u32_e32 v0, s4, v16
	v_ashrrev_i32_e32 v1, 31, v0
	v_lshl_add_u64 v[0:1], v[0:1], 1, s[12:13]
	global_load_dwordx2 v[18:19], v[0:1], off
	s_lshr_b32 s0, s22, 2
	s_mul_i32 s0, s16, s0
	s_ashr_i32 s1, s0, 31
	s_lshl_b64 s[0:1], s[0:1], 2
	s_add_u32 s0, s8, s0
	s_addc_u32 s1, s9, s1
	s_ashr_i32 s17, s16, 31
	v_mov_b32_e32 v36, 0
	s_add_i32 s8, s6, s22
	v_lshl_add_u64 v[20:21], v[16:17], 2, s[0:1]
	s_lshl_b64 s[0:1], s[16:17], 5
	s_lshl_b64 s[4:5], s[16:17], 2
	v_mov_b32_e32 v37, 0
	s_waitcnt vmcnt(1)
	v_and_b32_e32 v17, 0xff, v2
	v_bfe_u32 v26, v2, 8, 8
	v_bfe_u32 v27, v2, 16, 8
	v_lshrrev_b32_e32 v28, 24, v2
	s_branch .LBB18_8
.LBB18_7:                               ;   in Loop: Header=BB18_8 Depth=1
	global_load_dwordx4 v[6:9], v[20:21], off
	v_lshl_add_u64 v[4:5], v[20:21], 0, s[4:5]
	global_load_dwordx4 v[0:3], v[4:5], off
	v_add_u32_e32 v32, v17, v25
	v_add_u32_e32 v30, v27, v25
	;; [unrolled: 1-line block ×4, first 2 shown]
	v_mov_b32_e32 v33, s2
	s_add_i32 s22, s22, 32
	s_add_i32 s2, s2, 64
	s_cmp_ge_i32 s22, s23
	v_lshl_add_u64 v[20:21], v[20:21], 0, s[0:1]
	s_waitcnt vmcnt(1)
	v_sub_u32_sdwa v10, v6, v32 dst_sel:DWORD dst_unused:UNUSED_PAD src0_sel:BYTE_0 src1_sel:DWORD
	v_sub_u32_sdwa v11, v6, v32 dst_sel:DWORD dst_unused:UNUSED_PAD src0_sel:BYTE_1 src1_sel:DWORD
	v_sub_u32_sdwa v41, v8, v30 dst_sel:DWORD dst_unused:UNUSED_PAD src0_sel:BYTE_0 src1_sel:DWORD
	v_sub_u32_sdwa v42, v8, v30 dst_sel:DWORD dst_unused:UNUSED_PAD src0_sel:BYTE_1 src1_sel:DWORD
	v_sub_u32_sdwa v43, v8, v30 dst_sel:DWORD dst_unused:UNUSED_PAD src0_sel:BYTE_2 src1_sel:DWORD
	v_sub_u32_sdwa v44, v8, v30 dst_sel:DWORD dst_unused:UNUSED_PAD src0_sel:BYTE_3 src1_sel:DWORD
	v_sub_u32_sdwa v45, v9, v29 dst_sel:DWORD dst_unused:UNUSED_PAD src0_sel:BYTE_0 src1_sel:DWORD
	v_sub_u32_sdwa v46, v9, v29 dst_sel:DWORD dst_unused:UNUSED_PAD src0_sel:BYTE_1 src1_sel:DWORD
	v_sub_u32_sdwa v47, v9, v29 dst_sel:DWORD dst_unused:UNUSED_PAD src0_sel:BYTE_2 src1_sel:DWORD
	v_sub_u32_sdwa v48, v9, v29 dst_sel:DWORD dst_unused:UNUSED_PAD src0_sel:BYTE_3 src1_sel:DWORD
	v_lshl_add_u64 v[8:9], v[4:5], 0, s[4:5]
	v_cvt_f32_i32_e32 v4, v10
	v_sub_u32_sdwa v22, v6, v32 dst_sel:DWORD dst_unused:UNUSED_PAD src0_sel:BYTE_2 src1_sel:DWORD
	v_sub_u32_sdwa v23, v7, v31 dst_sel:DWORD dst_unused:UNUSED_PAD src0_sel:BYTE_0 src1_sel:DWORD
	v_cvt_f32_i32_e32 v5, v11
	v_sub_u32_sdwa v6, v6, v32 dst_sel:DWORD dst_unused:UNUSED_PAD src0_sel:BYTE_3 src1_sel:DWORD
	v_sub_u32_sdwa v38, v7, v31 dst_sel:DWORD dst_unused:UNUSED_PAD src0_sel:BYTE_1 src1_sel:DWORD
	v_sub_u32_sdwa v39, v7, v31 dst_sel:DWORD dst_unused:UNUSED_PAD src0_sel:BYTE_2 src1_sel:DWORD
	v_sub_u32_sdwa v40, v7, v31 dst_sel:DWORD dst_unused:UNUSED_PAD src0_sel:BYTE_3 src1_sel:DWORD
	v_cvt_f32_i32_e32 v7, v22
	v_cvt_f32_i32_e32 v10, v23
	;; [unrolled: 1-line block ×4, first 2 shown]
	s_waitcnt vmcnt(0)
	v_sub_u32_sdwa v49, v0, v32 dst_sel:DWORD dst_unused:UNUSED_PAD src0_sel:BYTE_0 src1_sel:DWORD
	v_sub_u32_sdwa v50, v0, v32 dst_sel:DWORD dst_unused:UNUSED_PAD src0_sel:BYTE_1 src1_sel:DWORD
	v_sub_u32_sdwa v51, v0, v32 dst_sel:DWORD dst_unused:UNUSED_PAD src0_sel:BYTE_2 src1_sel:DWORD
	v_sub_u32_sdwa v52, v0, v32 dst_sel:DWORD dst_unused:UNUSED_PAD src0_sel:BYTE_3 src1_sel:DWORD
	v_sub_u32_sdwa v53, v1, v31 dst_sel:DWORD dst_unused:UNUSED_PAD src0_sel:BYTE_0 src1_sel:DWORD
	v_sub_u32_sdwa v54, v1, v31 dst_sel:DWORD dst_unused:UNUSED_PAD src0_sel:BYTE_1 src1_sel:DWORD
	v_sub_u32_sdwa v55, v1, v31 dst_sel:DWORD dst_unused:UNUSED_PAD src0_sel:BYTE_2 src1_sel:DWORD
	v_sub_u32_sdwa v56, v1, v31 dst_sel:DWORD dst_unused:UNUSED_PAD src0_sel:BYTE_3 src1_sel:DWORD
	;; [unrolled: 4-line block ×4, first 2 shown]
	ds_read_b128 v[12:15], v33
	ds_read_b128 v[0:3], v33 offset:16
	v_cvt_f16_f32_e32 v4, v4
	v_cvt_f16_f32_e32 v5, v5
	v_cvt_f16_f32_e32 v7, v7
	v_cvt_f16_f32_e32 v10, v10
	v_cvt_f16_f32_e32 v6, v6
	v_cvt_f16_f32_e32 v11, v11
	s_waitcnt lgkmcnt(1)
	v_fma_mix_f32 v4, v4, v12, 0 op_sel_hi:[1,1,0]
	v_fma_mix_f32 v10, v10, v12, 0 op_sel_hi:[1,1,0]
	v_fma_mix_f32 v4, v5, v12, v4 op_sel:[0,1,0] op_sel_hi:[1,1,0]
	v_fma_mix_f32 v38, v11, v12, v10 op_sel:[0,1,0] op_sel_hi:[1,1,0]
	v_fma_mix_f32 v4, v7, v13, v4 op_sel_hi:[1,1,0]
	v_lshl_add_u64 v[22:23], v[8:9], 0, s[4:5]
	v_fma_mix_f32 v10, v6, v13, v4 op_sel:[0,1,0] op_sel_hi:[1,1,0]
	global_load_dwordx4 v[4:7], v[8:9], off
	v_cvt_f32_i32_e32 v8, v49
	v_cvt_f32_i32_e32 v9, v50
	;; [unrolled: 1-line block ×4, first 2 shown]
	v_cvt_f16_f32_e32 v8, v8
	v_cvt_f16_f32_e32 v9, v9
	;; [unrolled: 1-line block ×4, first 2 shown]
	v_fma_mix_f32 v8, v8, v14, v10 op_sel_hi:[1,1,0]
	v_cvt_f32_i32_e32 v39, v39
	v_fma_mix_f32 v8, v9, v14, v8 op_sel:[0,1,0] op_sel_hi:[1,1,0]
	v_cvt_f32_i32_e32 v40, v40
	v_fma_mix_f32 v8, v11, v15, v8 op_sel_hi:[1,1,0]
	v_cvt_f32_i32_e32 v41, v41
	v_fma_mix_f32 v49, v49, v15, v8 op_sel:[0,1,0] op_sel_hi:[1,1,0]
	global_load_dwordx4 v[8:11], v[22:23], off
	v_cvt_f32_i32_e32 v45, v45
	v_cvt_f32_i32_e32 v42, v42
	;; [unrolled: 1-line block ×6, first 2 shown]
	v_cvt_f16_f32_e32 v39, v39
	v_cvt_f32_i32_e32 v48, v48
	v_cvt_f32_i32_e32 v50, v53
	;; [unrolled: 1-line block ×5, first 2 shown]
	v_cvt_f16_f32_e32 v40, v40
	v_cvt_f16_f32_e32 v41, v41
	v_cvt_f32_i32_e32 v55, v58
	v_cvt_f16_f32_e32 v45, v45
	v_cvt_f32_i32_e32 v58, v61
	v_cvt_f32_i32_e32 v53, v56
	v_cvt_f16_f32_e32 v42, v42
	v_cvt_f32_i32_e32 v56, v59
	v_cvt_f16_f32_e32 v46, v46
	;; [unrolled: 2-line block ×5, first 2 shown]
	v_cvt_f16_f32_e32 v48, v48
	v_cvt_f32_i32_e32 v61, v64
	v_fma_mix_f32 v38, v39, v13, v38 op_sel_hi:[1,1,0]
	v_cvt_f16_f32_e32 v50, v50
	v_cvt_f16_f32_e32 v54, v54
	;; [unrolled: 1-line block ×3, first 2 shown]
	v_fma_mix_f32 v38, v40, v13, v38 op_sel:[0,1,0] op_sel_hi:[1,1,0]
	v_fma_mix_f32 v39, v41, v12, 0 op_sel_hi:[1,1,0]
	v_fma_mix_f32 v40, v45, v12, 0 op_sel_hi:[1,1,0]
	v_cvt_f16_f32_e32 v51, v51
	v_cvt_f16_f32_e32 v55, v55
	;; [unrolled: 1-line block ×3, first 2 shown]
	v_fma_mix_f32 v39, v42, v12, v39 op_sel:[0,1,0] op_sel_hi:[1,1,0]
	v_fma_mix_f32 v12, v46, v12, v40 op_sel:[0,1,0] op_sel_hi:[1,1,0]
	v_cvt_f16_f32_e32 v52, v52
	v_cvt_f16_f32_e32 v56, v56
	;; [unrolled: 1-line block ×3, first 2 shown]
	v_fma_mix_f32 v39, v43, v13, v39 op_sel_hi:[1,1,0]
	v_fma_mix_f32 v12, v47, v13, v12 op_sel_hi:[1,1,0]
	v_cvt_f16_f32_e32 v53, v53
	v_cvt_f16_f32_e32 v57, v57
	;; [unrolled: 1-line block ×3, first 2 shown]
	v_fma_mix_f32 v39, v44, v13, v39 op_sel:[0,1,0] op_sel_hi:[1,1,0]
	v_fma_mix_f32 v12, v48, v13, v12 op_sel:[0,1,0] op_sel_hi:[1,1,0]
	v_fma_mix_f32 v38, v50, v14, v38 op_sel_hi:[1,1,0]
	v_fma_mix_f32 v39, v54, v14, v39 op_sel_hi:[1,1,0]
	;; [unrolled: 1-line block ×3, first 2 shown]
	v_fma_mix_f32 v38, v51, v14, v38 op_sel:[0,1,0] op_sel_hi:[1,1,0]
	v_fma_mix_f32 v39, v55, v14, v39 op_sel:[0,1,0] op_sel_hi:[1,1,0]
	;; [unrolled: 1-line block ×3, first 2 shown]
	v_fma_mix_f32 v38, v52, v15, v38 op_sel_hi:[1,1,0]
	v_fma_mix_f32 v39, v56, v15, v39 op_sel_hi:[1,1,0]
	;; [unrolled: 1-line block ×3, first 2 shown]
	v_fma_mix_f32 v38, v53, v15, v38 op_sel:[0,1,0] op_sel_hi:[1,1,0]
	v_fma_mix_f32 v39, v57, v15, v39 op_sel:[0,1,0] op_sel_hi:[1,1,0]
	;; [unrolled: 1-line block ×3, first 2 shown]
	v_fma_mixlo_f16 v49, v49, v18, 0 op_sel_hi:[0,1,0]
	v_fma_mixlo_f16 v38, v38, v18, 0 op_sel:[0,1,0] op_sel_hi:[0,1,0]
	v_fma_mixlo_f16 v39, v39, v19, 0 op_sel_hi:[0,1,0]
	v_fma_mixlo_f16 v12, v12, v19, 0 op_sel:[0,1,0] op_sel_hi:[0,1,0]
	v_add_f16_e32 v13, v37, v49
	v_add_f16_e32 v14, v36, v38
	s_waitcnt vmcnt(1)
	v_sub_u32_sdwa v15, v4, v32 dst_sel:DWORD dst_unused:UNUSED_PAD src0_sel:BYTE_0 src1_sel:DWORD
	v_sub_u32_sdwa v36, v4, v32 dst_sel:DWORD dst_unused:UNUSED_PAD src0_sel:BYTE_1 src1_sel:DWORD
	v_add_f16_e32 v37, v34, v39
	v_add_f16_e32 v34, v35, v12
	v_sub_u32_sdwa v35, v4, v32 dst_sel:DWORD dst_unused:UNUSED_PAD src0_sel:BYTE_2 src1_sel:DWORD
	v_sub_u32_sdwa v4, v4, v32 dst_sel:DWORD dst_unused:UNUSED_PAD src0_sel:BYTE_3 src1_sel:DWORD
	v_cvt_f32_i32_e32 v4, v4
	v_cvt_f32_i32_e32 v15, v15
	;; [unrolled: 1-line block ×4, first 2 shown]
	v_cvt_f16_f32_e32 v39, v4
	s_waitcnt vmcnt(0)
	v_sub_u32_sdwa v4, v8, v32 dst_sel:DWORD dst_unused:UNUSED_PAD src0_sel:BYTE_2 src1_sel:DWORD
	v_cvt_f32_i32_e32 v4, v4
	v_cvt_f16_f32_e32 v12, v15
	v_cvt_f16_f32_e32 v15, v36
	v_sub_u32_sdwa v36, v8, v32 dst_sel:DWORD dst_unused:UNUSED_PAD src0_sel:BYTE_0 src1_sel:DWORD
	v_cvt_f32_i32_e32 v36, v36
	v_sub_u32_sdwa v38, v8, v32 dst_sel:DWORD dst_unused:UNUSED_PAD src0_sel:BYTE_1 src1_sel:DWORD
	v_cvt_f16_f32_e32 v35, v35
	v_sub_u32_sdwa v8, v8, v32 dst_sel:DWORD dst_unused:UNUSED_PAD src0_sel:BYTE_3 src1_sel:DWORD
	v_cvt_f16_f32_e32 v42, v4
	v_sub_u32_sdwa v4, v5, v31 dst_sel:DWORD dst_unused:UNUSED_PAD src0_sel:BYTE_2 src1_sel:DWORD
	v_cvt_f32_i32_e32 v8, v8
	v_cvt_f32_i32_e32 v44, v4
	v_sub_u32_sdwa v4, v5, v31 dst_sel:DWORD dst_unused:UNUSED_PAD src0_sel:BYTE_3 src1_sel:DWORD
	v_cvt_f16_f32_e32 v36, v36
	v_cvt_f32_i32_e32 v45, v4
	s_waitcnt lgkmcnt(0)
	v_fma_mix_f32 v4, v12, v0, 0 op_sel_hi:[1,1,0]
	v_sub_u32_sdwa v40, v5, v31 dst_sel:DWORD dst_unused:UNUSED_PAD src0_sel:BYTE_0 src1_sel:DWORD
	v_fma_mix_f32 v4, v15, v0, v4 op_sel:[0,1,0] op_sel_hi:[1,1,0]
	v_sub_u32_sdwa v41, v5, v31 dst_sel:DWORD dst_unused:UNUSED_PAD src0_sel:BYTE_1 src1_sel:DWORD
	v_sub_u32_sdwa v50, v6, v30 dst_sel:DWORD dst_unused:UNUSED_PAD src0_sel:BYTE_0 src1_sel:DWORD
	v_sub_u32_sdwa v51, v6, v30 dst_sel:DWORD dst_unused:UNUSED_PAD src0_sel:BYTE_1 src1_sel:DWORD
	v_sub_u32_sdwa v52, v6, v30 dst_sel:DWORD dst_unused:UNUSED_PAD src0_sel:BYTE_2 src1_sel:DWORD
	v_sub_u32_sdwa v53, v6, v30 dst_sel:DWORD dst_unused:UNUSED_PAD src0_sel:BYTE_3 src1_sel:DWORD
	v_fma_mix_f32 v6, v35, v1, v4 op_sel_hi:[1,1,0]
	v_lshl_add_u64 v[4:5], v[22:23], 0, s[4:5]
	v_cvt_f16_f32_e32 v43, v8
	v_sub_u32_sdwa v46, v9, v31 dst_sel:DWORD dst_unused:UNUSED_PAD src0_sel:BYTE_0 src1_sel:DWORD
	v_sub_u32_sdwa v47, v9, v31 dst_sel:DWORD dst_unused:UNUSED_PAD src0_sel:BYTE_1 src1_sel:DWORD
	v_sub_u32_sdwa v48, v9, v31 dst_sel:DWORD dst_unused:UNUSED_PAD src0_sel:BYTE_2 src1_sel:DWORD
	v_sub_u32_sdwa v49, v9, v31 dst_sel:DWORD dst_unused:UNUSED_PAD src0_sel:BYTE_3 src1_sel:DWORD
	v_sub_u32_sdwa v54, v10, v30 dst_sel:DWORD dst_unused:UNUSED_PAD src0_sel:BYTE_0 src1_sel:DWORD
	v_sub_u32_sdwa v55, v10, v30 dst_sel:DWORD dst_unused:UNUSED_PAD src0_sel:BYTE_1 src1_sel:DWORD
	v_sub_u32_sdwa v56, v10, v30 dst_sel:DWORD dst_unused:UNUSED_PAD src0_sel:BYTE_2 src1_sel:DWORD
	v_sub_u32_sdwa v57, v10, v30 dst_sel:DWORD dst_unused:UNUSED_PAD src0_sel:BYTE_3 src1_sel:DWORD
	;; [unrolled: 4-line block ×3, first 2 shown]
	global_load_dwordx4 v[8:11], v[4:5], off
	v_fma_mix_f32 v6, v39, v1, v6 op_sel:[0,1,0] op_sel_hi:[1,1,0]
	v_lshl_add_u64 v[22:23], v[4:5], 0, s[4:5]
	v_sub_u32_sdwa v58, v7, v29 dst_sel:DWORD dst_unused:UNUSED_PAD src0_sel:BYTE_0 src1_sel:DWORD
	v_sub_u32_sdwa v59, v7, v29 dst_sel:DWORD dst_unused:UNUSED_PAD src0_sel:BYTE_1 src1_sel:DWORD
	v_sub_u32_sdwa v60, v7, v29 dst_sel:DWORD dst_unused:UNUSED_PAD src0_sel:BYTE_2 src1_sel:DWORD
	v_sub_u32_sdwa v61, v7, v29 dst_sel:DWORD dst_unused:UNUSED_PAD src0_sel:BYTE_3 src1_sel:DWORD
	v_fma_mix_f32 v12, v36, v2, v6 op_sel_hi:[1,1,0]
	global_load_dwordx4 v[4:7], v[22:23], off
	v_cvt_f32_i32_e32 v38, v38
	v_cvt_f32_i32_e32 v40, v40
	v_cvt_f32_i32_e32 v41, v41
	v_cvt_f32_i32_e32 v36, v46
	v_cvt_f32_i32_e32 v46, v50
	v_cvt_f16_f32_e32 v38, v38
	v_cvt_f16_f32_e32 v40, v40
	v_cvt_f32_i32_e32 v39, v47
	v_cvt_f32_i32_e32 v47, v51
	v_cvt_f16_f32_e32 v41, v41
	v_cvt_f16_f32_e32 v15, v44
	v_cvt_f32_i32_e32 v44, v48
	v_cvt_f32_i32_e32 v48, v52
	v_cvt_f16_f32_e32 v35, v45
	v_cvt_f32_i32_e32 v45, v49
	v_cvt_f32_i32_e32 v49, v53
	v_cvt_f16_f32_e32 v46, v46
	v_cvt_f32_i32_e32 v50, v54
	v_cvt_f16_f32_e32 v47, v47
	v_cvt_f32_i32_e32 v51, v55
	v_cvt_f32_i32_e32 v54, v58
	v_fma_mix_f32 v12, v38, v2, v12 op_sel:[0,1,0] op_sel_hi:[1,1,0]
	v_fma_mix_f32 v38, v40, v0, 0 op_sel_hi:[1,1,0]
	v_cvt_f16_f32_e32 v48, v48
	v_cvt_f32_i32_e32 v52, v56
	v_cvt_f32_i32_e32 v55, v59
	v_fma_mix_f32 v38, v41, v0, v38 op_sel:[0,1,0] op_sel_hi:[1,1,0]
	v_cvt_f16_f32_e32 v49, v49
	v_cvt_f32_i32_e32 v53, v57
	v_cvt_f32_i32_e32 v56, v60
	v_fma_mix_f32 v15, v15, v1, v38 op_sel_hi:[1,1,0]
	v_cvt_f16_f32_e32 v50, v50
	v_cvt_f32_i32_e32 v57, v61
	v_fma_mix_f32 v15, v35, v1, v15 op_sel:[0,1,0] op_sel_hi:[1,1,0]
	v_fma_mix_f32 v35, v46, v0, 0 op_sel_hi:[1,1,0]
	v_cvt_f16_f32_e32 v36, v36
	v_cvt_f16_f32_e32 v51, v51
	;; [unrolled: 1-line block ×3, first 2 shown]
	v_cvt_f32_i32_e32 v58, v62
	v_fma_mix_f32 v35, v47, v0, v35 op_sel:[0,1,0] op_sel_hi:[1,1,0]
	v_cvt_f16_f32_e32 v52, v52
	v_cvt_f16_f32_e32 v55, v55
	v_cvt_f32_i32_e32 v59, v63
	v_fma_mix_f32 v35, v48, v1, v35 op_sel_hi:[1,1,0]
	v_cvt_f16_f32_e32 v53, v53
	v_cvt_f16_f32_e32 v56, v56
	v_cvt_f32_i32_e32 v60, v64
	v_fma_mix_f32 v35, v49, v1, v35 op_sel:[0,1,0] op_sel_hi:[1,1,0]
	v_cvt_f16_f32_e32 v57, v57
	v_cvt_f32_i32_e32 v61, v65
	v_fma_mix_f32 v35, v50, v2, v35 op_sel_hi:[1,1,0]
	v_cvt_f16_f32_e32 v58, v58
	v_fma_mix_f32 v15, v36, v2, v15 op_sel_hi:[1,1,0]
	v_fma_mix_f32 v35, v51, v2, v35 op_sel:[0,1,0] op_sel_hi:[1,1,0]
	v_fma_mix_f32 v36, v54, v0, 0 op_sel_hi:[1,1,0]
	v_cvt_f16_f32_e32 v39, v39
	v_cvt_f16_f32_e32 v59, v59
	v_fma_mix_f32 v35, v52, v3, v35 op_sel_hi:[1,1,0]
	v_fma_mix_f32 v0, v55, v0, v36 op_sel:[0,1,0] op_sel_hi:[1,1,0]
	v_cvt_f16_f32_e32 v44, v44
	v_cvt_f16_f32_e32 v60, v60
	v_fma_mix_f32 v35, v53, v3, v35 op_sel:[0,1,0] op_sel_hi:[1,1,0]
	v_fma_mix_f32 v0, v56, v1, v0 op_sel_hi:[1,1,0]
	v_cvt_f16_f32_e32 v45, v45
	v_cvt_f16_f32_e32 v61, v61
	v_fma_mixlo_f16 v35, v35, v19, 0 op_sel_hi:[0,1,0]
	v_fma_mix_f32 v0, v57, v1, v0 op_sel:[0,1,0] op_sel_hi:[1,1,0]
	v_add_f16_e32 v35, v37, v35
	v_fma_mix_f32 v0, v58, v2, v0 op_sel_hi:[1,1,0]
	v_fma_mix_f32 v15, v39, v2, v15 op_sel:[0,1,0] op_sel_hi:[1,1,0]
	v_fma_mix_f32 v0, v59, v2, v0 op_sel:[0,1,0] op_sel_hi:[1,1,0]
	s_waitcnt vmcnt(1)
	v_sub_u32_sdwa v37, v8, v32 dst_sel:DWORD dst_unused:UNUSED_PAD src0_sel:BYTE_0 src1_sel:DWORD
	v_sub_u32_sdwa v40, v8, v32 dst_sel:DWORD dst_unused:UNUSED_PAD src0_sel:BYTE_1 src1_sel:DWORD
	v_sub_u32_sdwa v41, v8, v32 dst_sel:DWORD dst_unused:UNUSED_PAD src0_sel:BYTE_2 src1_sel:DWORD
	v_sub_u32_sdwa v52, v10, v30 dst_sel:DWORD dst_unused:UNUSED_PAD src0_sel:BYTE_0 src1_sel:DWORD
	v_sub_u32_sdwa v53, v10, v30 dst_sel:DWORD dst_unused:UNUSED_PAD src0_sel:BYTE_1 src1_sel:DWORD
	v_sub_u32_sdwa v54, v10, v30 dst_sel:DWORD dst_unused:UNUSED_PAD src0_sel:BYTE_2 src1_sel:DWORD
	v_sub_u32_sdwa v55, v10, v30 dst_sel:DWORD dst_unused:UNUSED_PAD src0_sel:BYTE_3 src1_sel:DWORD
	v_cvt_f32_i32_e32 v10, v41
	s_waitcnt vmcnt(0)
	v_sub_u32_sdwa v56, v6, v30 dst_sel:DWORD dst_unused:UNUSED_PAD src0_sel:BYTE_0 src1_sel:DWORD
	v_sub_u32_sdwa v57, v6, v30 dst_sel:DWORD dst_unused:UNUSED_PAD src0_sel:BYTE_1 src1_sel:DWORD
	v_sub_u32_sdwa v58, v6, v30 dst_sel:DWORD dst_unused:UNUSED_PAD src0_sel:BYTE_2 src1_sel:DWORD
	v_sub_u32_sdwa v59, v6, v30 dst_sel:DWORD dst_unused:UNUSED_PAD src0_sel:BYTE_3 src1_sel:DWORD
	v_sub_u32_sdwa v64, v7, v29 dst_sel:DWORD dst_unused:UNUSED_PAD src0_sel:BYTE_0 src1_sel:DWORD
	v_sub_u32_sdwa v65, v7, v29 dst_sel:DWORD dst_unused:UNUSED_PAD src0_sel:BYTE_1 src1_sel:DWORD
	v_sub_u32_sdwa v66, v7, v29 dst_sel:DWORD dst_unused:UNUSED_PAD src0_sel:BYTE_2 src1_sel:DWORD
	v_sub_u32_sdwa v67, v7, v29 dst_sel:DWORD dst_unused:UNUSED_PAD src0_sel:BYTE_3 src1_sel:DWORD
	v_cvt_f32_i32_e32 v6, v37
	v_cvt_f32_i32_e32 v7, v40
	v_fma_mix_f32 v12, v42, v3, v12 op_sel_hi:[1,1,0]
	v_fma_mix_f32 v15, v44, v3, v15 op_sel_hi:[1,1,0]
	;; [unrolled: 1-line block ×3, first 2 shown]
	v_fma_mix_f32 v12, v43, v3, v12 op_sel:[0,1,0] op_sel_hi:[1,1,0]
	v_fma_mix_f32 v15, v45, v3, v15 op_sel:[0,1,0] op_sel_hi:[1,1,0]
	;; [unrolled: 1-line block ×3, first 2 shown]
	v_sub_u32_sdwa v8, v8, v32 dst_sel:DWORD dst_unused:UNUSED_PAD src0_sel:BYTE_3 src1_sel:DWORD
	v_fma_mixlo_f16 v12, v12, v18, 0 op_sel_hi:[0,1,0]
	v_fma_mixlo_f16 v15, v15, v18, 0 op_sel:[0,1,0] op_sel_hi:[0,1,0]
	v_sub_u32_sdwa v42, v4, v32 dst_sel:DWORD dst_unused:UNUSED_PAD src0_sel:BYTE_0 src1_sel:DWORD
	v_sub_u32_sdwa v43, v4, v32 dst_sel:DWORD dst_unused:UNUSED_PAD src0_sel:BYTE_1 src1_sel:DWORD
	v_sub_u32_sdwa v44, v4, v32 dst_sel:DWORD dst_unused:UNUSED_PAD src0_sel:BYTE_2 src1_sel:DWORD
	v_sub_u32_sdwa v4, v4, v32 dst_sel:DWORD dst_unused:UNUSED_PAD src0_sel:BYTE_3 src1_sel:DWORD
	v_sub_u32_sdwa v48, v5, v31 dst_sel:DWORD dst_unused:UNUSED_PAD src0_sel:BYTE_0 src1_sel:DWORD
	v_sub_u32_sdwa v49, v5, v31 dst_sel:DWORD dst_unused:UNUSED_PAD src0_sel:BYTE_1 src1_sel:DWORD
	v_sub_u32_sdwa v50, v5, v31 dst_sel:DWORD dst_unused:UNUSED_PAD src0_sel:BYTE_2 src1_sel:DWORD
	v_sub_u32_sdwa v51, v5, v31 dst_sel:DWORD dst_unused:UNUSED_PAD src0_sel:BYTE_3 src1_sel:DWORD
	v_fma_mixlo_f16 v5, v36, v19, 0 op_sel:[0,1,0] op_sel_hi:[0,1,0]
	v_cvt_f32_i32_e32 v8, v8
	v_add_f16_e32 v38, v13, v12
	v_add_f16_e32 v39, v14, v15
	v_sub_u32_sdwa v60, v11, v29 dst_sel:DWORD dst_unused:UNUSED_PAD src0_sel:BYTE_0 src1_sel:DWORD
	v_sub_u32_sdwa v61, v11, v29 dst_sel:DWORD dst_unused:UNUSED_PAD src0_sel:BYTE_1 src1_sel:DWORD
	v_sub_u32_sdwa v62, v11, v29 dst_sel:DWORD dst_unused:UNUSED_PAD src0_sel:BYTE_2 src1_sel:DWORD
	v_sub_u32_sdwa v63, v11, v29 dst_sel:DWORD dst_unused:UNUSED_PAD src0_sel:BYTE_3 src1_sel:DWORD
	ds_read_b128 v[12:15], v33 offset:32
	ds_read_b128 v[0:3], v33 offset:48
	v_add_f16_e32 v33, v34, v5
	v_cvt_f16_f32_e32 v5, v6
	v_cvt_f16_f32_e32 v6, v7
	;; [unrolled: 1-line block ×3, first 2 shown]
	v_cvt_f32_i32_e32 v10, v42
	v_cvt_f32_i32_e32 v11, v43
	;; [unrolled: 1-line block ×3, first 2 shown]
	v_sub_u32_sdwa v45, v9, v31 dst_sel:DWORD dst_unused:UNUSED_PAD src0_sel:BYTE_0 src1_sel:DWORD
	v_sub_u32_sdwa v46, v9, v31 dst_sel:DWORD dst_unused:UNUSED_PAD src0_sel:BYTE_1 src1_sel:DWORD
	v_cvt_f16_f32_e32 v8, v8
	v_cvt_f16_f32_e32 v36, v10
	;; [unrolled: 1-line block ×3, first 2 shown]
	v_cvt_f32_i32_e32 v10, v45
	v_cvt_f32_i32_e32 v11, v46
	v_cvt_f16_f32_e32 v41, v4
	s_waitcnt lgkmcnt(1)
	v_fma_mix_f32 v4, v5, v12, 0 op_sel_hi:[1,1,0]
	v_sub_u32_sdwa v47, v9, v31 dst_sel:DWORD dst_unused:UNUSED_PAD src0_sel:BYTE_2 src1_sel:DWORD
	v_fma_mix_f32 v4, v6, v12, v4 op_sel:[0,1,0] op_sel_hi:[1,1,0]
	v_sub_u32_sdwa v9, v9, v31 dst_sel:DWORD dst_unused:UNUSED_PAD src0_sel:BYTE_3 src1_sel:DWORD
	v_fma_mix_f32 v4, v7, v13, v4 op_sel_hi:[1,1,0]
	v_cvt_f32_i32_e32 v7, v48
	v_fma_mix_f32 v6, v8, v13, v4 op_sel:[0,1,0] op_sel_hi:[1,1,0]
	v_lshl_add_u64 v[4:5], v[22:23], 0, s[4:5]
	v_cvt_f32_i32_e32 v34, v44
	v_cvt_f16_f32_e32 v42, v10
	v_cvt_f16_f32_e32 v43, v11
	v_cvt_f32_i32_e32 v44, v9
	global_load_dwordx4 v[8:11], v[4:5], off
	v_fma_mix_f32 v6, v36, v14, v6 op_sel_hi:[1,1,0]
	v_lshl_add_u64 v[4:5], v[4:5], 0, s[4:5]
	v_cvt_f16_f32_e32 v45, v7
	v_fma_mix_f32 v36, v37, v14, v6 op_sel:[0,1,0] op_sel_hi:[1,1,0]
	global_load_dwordx4 v[4:7], v[4:5], off
	v_cvt_f32_i32_e32 v40, v47
	v_cvt_f32_i32_e32 v46, v51
	v_cvt_f16_f32_e32 v34, v34
	v_cvt_f32_i32_e32 v22, v49
	v_cvt_f16_f32_e32 v40, v40
	;; [unrolled: 2-line block ×4, first 2 shown]
	v_cvt_f32_i32_e32 v47, v53
	v_cvt_f32_i32_e32 v48, v54
	;; [unrolled: 1-line block ×5, first 2 shown]
	v_fma_mix_f32 v34, v34, v15, v36 op_sel_hi:[1,1,0]
	v_fma_mix_f32 v36, v42, v12, 0 op_sel_hi:[1,1,0]
	v_cvt_f16_f32_e32 v22, v22
	v_cvt_f32_i32_e32 v50, v56
	v_cvt_f32_i32_e32 v56, v62
	v_fma_mix_f32 v36, v43, v12, v36 op_sel:[0,1,0] op_sel_hi:[1,1,0]
	v_cvt_f16_f32_e32 v23, v23
	v_cvt_f16_f32_e32 v46, v46
	v_cvt_f32_i32_e32 v51, v57
	v_cvt_f32_i32_e32 v57, v63
	v_fma_mix_f32 v36, v40, v13, v36 op_sel_hi:[1,1,0]
	v_cvt_f16_f32_e32 v47, v47
	v_cvt_f32_i32_e32 v52, v58
	v_cvt_f16_f32_e32 v54, v54
	v_cvt_f32_i32_e32 v58, v64
	v_fma_mix_f32 v36, v44, v13, v36 op_sel:[0,1,0] op_sel_hi:[1,1,0]
	v_cvt_f16_f32_e32 v48, v48
	v_cvt_f32_i32_e32 v53, v59
	v_cvt_f16_f32_e32 v55, v55
	v_cvt_f32_i32_e32 v59, v65
	v_fma_mix_f32 v36, v45, v14, v36 op_sel_hi:[1,1,0]
	v_cvt_f16_f32_e32 v49, v49
	v_cvt_f16_f32_e32 v56, v56
	v_cvt_f32_i32_e32 v60, v66
	v_fma_mix_f32 v22, v22, v14, v36 op_sel:[0,1,0] op_sel_hi:[1,1,0]
	v_cvt_f16_f32_e32 v50, v50
	v_cvt_f16_f32_e32 v57, v57
	v_cvt_f32_i32_e32 v61, v67
	v_fma_mix_f32 v22, v23, v15, v22 op_sel_hi:[1,1,0]
	v_fma_mix_f32 v23, v46, v12, 0 op_sel_hi:[1,1,0]
	v_cvt_f16_f32_e32 v51, v51
	v_cvt_f16_f32_e32 v58, v58
	v_fma_mix_f32 v23, v47, v12, v23 op_sel:[0,1,0] op_sel_hi:[1,1,0]
	v_fma_mix_f32 v36, v54, v12, 0 op_sel_hi:[1,1,0]
	v_cvt_f16_f32_e32 v52, v52
	v_cvt_f16_f32_e32 v59, v59
	v_fma_mix_f32 v23, v48, v13, v23 op_sel_hi:[1,1,0]
	v_fma_mix_f32 v12, v55, v12, v36 op_sel:[0,1,0] op_sel_hi:[1,1,0]
	v_cvt_f16_f32_e32 v53, v53
	v_cvt_f16_f32_e32 v60, v60
	v_fma_mix_f32 v23, v49, v13, v23 op_sel:[0,1,0] op_sel_hi:[1,1,0]
	v_fma_mix_f32 v12, v56, v13, v12 op_sel_hi:[1,1,0]
	v_cvt_f16_f32_e32 v61, v61
	v_fma_mix_f32 v23, v50, v14, v23 op_sel_hi:[1,1,0]
	v_fma_mix_f32 v12, v57, v13, v12 op_sel:[0,1,0] op_sel_hi:[1,1,0]
	v_fma_mix_f32 v23, v51, v14, v23 op_sel:[0,1,0] op_sel_hi:[1,1,0]
	v_fma_mix_f32 v12, v58, v14, v12 op_sel_hi:[1,1,0]
	v_fma_mix_f32 v22, v37, v15, v22 op_sel:[0,1,0] op_sel_hi:[1,1,0]
	v_fma_mix_f32 v23, v52, v15, v23 op_sel_hi:[1,1,0]
	v_fma_mix_f32 v12, v59, v14, v12 op_sel:[0,1,0] op_sel_hi:[1,1,0]
	v_fma_mixlo_f16 v22, v22, v18, 0 op_sel:[0,1,0] op_sel_hi:[0,1,0]
	v_fma_mix_f32 v23, v53, v15, v23 op_sel:[0,1,0] op_sel_hi:[1,1,0]
	v_fma_mix_f32 v12, v60, v15, v12 op_sel_hi:[1,1,0]
	v_fma_mix_f32 v34, v41, v15, v34 op_sel:[0,1,0] op_sel_hi:[1,1,0]
	v_fma_mixlo_f16 v23, v23, v19, 0 op_sel_hi:[0,1,0]
	v_fma_mix_f32 v12, v61, v15, v12 op_sel:[0,1,0] op_sel_hi:[1,1,0]
	v_add_f16_e32 v14, v39, v22
	v_fma_mixlo_f16 v34, v34, v18, 0 op_sel_hi:[0,1,0]
	v_fma_mixlo_f16 v12, v12, v19, 0 op_sel:[0,1,0] op_sel_hi:[0,1,0]
	v_add_f16_e32 v15, v35, v23
	s_waitcnt vmcnt(1)
	v_sub_u32_sdwa v22, v8, v32 dst_sel:DWORD dst_unused:UNUSED_PAD src0_sel:BYTE_0 src1_sel:DWORD
	v_cvt_f32_i32_e32 v22, v22
	v_sub_u32_sdwa v23, v8, v32 dst_sel:DWORD dst_unused:UNUSED_PAD src0_sel:BYTE_1 src1_sel:DWORD
	v_add_f16_e32 v13, v38, v34
	v_add_f16_e32 v12, v33, v12
	v_cvt_f32_i32_e32 v23, v23
	v_sub_u32_sdwa v33, v8, v32 dst_sel:DWORD dst_unused:UNUSED_PAD src0_sel:BYTE_2 src1_sel:DWORD
	s_waitcnt vmcnt(0)
	v_sub_u32_sdwa v34, v4, v32 dst_sel:DWORD dst_unused:UNUSED_PAD src0_sel:BYTE_0 src1_sel:DWORD
	v_sub_u32_sdwa v35, v4, v32 dst_sel:DWORD dst_unused:UNUSED_PAD src0_sel:BYTE_1 src1_sel:DWORD
	v_sub_u32_sdwa v36, v4, v32 dst_sel:DWORD dst_unused:UNUSED_PAD src0_sel:BYTE_2 src1_sel:DWORD
	v_cvt_f32_i32_e32 v33, v33
	v_sub_u32_sdwa v8, v8, v32 dst_sel:DWORD dst_unused:UNUSED_PAD src0_sel:BYTE_3 src1_sel:DWORD
	v_cvt_f32_i32_e32 v34, v34
	v_cvt_f32_i32_e32 v35, v35
	;; [unrolled: 1-line block ×4, first 2 shown]
	v_cvt_f16_f32_e32 v22, v22
	v_cvt_f16_f32_e32 v23, v23
	;; [unrolled: 1-line block ×3, first 2 shown]
	v_sub_u32_sdwa v4, v4, v32 dst_sel:DWORD dst_unused:UNUSED_PAD src0_sel:BYTE_3 src1_sel:DWORD
	v_cvt_f16_f32_e32 v32, v34
	v_cvt_f16_f32_e32 v34, v35
	;; [unrolled: 1-line block ×3, first 2 shown]
	v_sub_u32_sdwa v36, v9, v31 dst_sel:DWORD dst_unused:UNUSED_PAD src0_sel:BYTE_0 src1_sel:DWORD
	v_cvt_f16_f32_e32 v8, v8
	v_cvt_f32_i32_e32 v4, v4
	v_cvt_f32_i32_e32 v36, v36
	v_sub_u32_sdwa v37, v9, v31 dst_sel:DWORD dst_unused:UNUSED_PAD src0_sel:BYTE_1 src1_sel:DWORD
	v_cvt_f32_i32_e32 v37, v37
	v_sub_u32_sdwa v38, v9, v31 dst_sel:DWORD dst_unused:UNUSED_PAD src0_sel:BYTE_2 src1_sel:DWORD
	v_sub_u32_sdwa v39, v5, v31 dst_sel:DWORD dst_unused:UNUSED_PAD src0_sel:BYTE_0 src1_sel:DWORD
	v_sub_u32_sdwa v40, v5, v31 dst_sel:DWORD dst_unused:UNUSED_PAD src0_sel:BYTE_1 src1_sel:DWORD
	v_sub_u32_sdwa v41, v5, v31 dst_sel:DWORD dst_unused:UNUSED_PAD src0_sel:BYTE_2 src1_sel:DWORD
	s_waitcnt lgkmcnt(0)
	v_fma_mix_f32 v22, v22, v0, 0 op_sel_hi:[1,1,0]
	v_cvt_f32_i32_e32 v38, v38
	v_sub_u32_sdwa v9, v9, v31 dst_sel:DWORD dst_unused:UNUSED_PAD src0_sel:BYTE_3 src1_sel:DWORD
	v_cvt_f32_i32_e32 v39, v39
	v_cvt_f32_i32_e32 v40, v40
	;; [unrolled: 1-line block ×3, first 2 shown]
	v_fma_mix_f32 v22, v23, v0, v22 op_sel:[0,1,0] op_sel_hi:[1,1,0]
	v_cvt_f32_i32_e32 v9, v9
	v_fma_mix_f32 v22, v33, v1, v22 op_sel_hi:[1,1,0]
	v_cvt_f16_f32_e32 v4, v4
	v_cvt_f16_f32_e32 v36, v36
	v_fma_mix_f32 v8, v8, v1, v22 op_sel:[0,1,0] op_sel_hi:[1,1,0]
	v_cvt_f16_f32_e32 v37, v37
	v_fma_mix_f32 v8, v32, v2, v8 op_sel_hi:[1,1,0]
	v_cvt_f16_f32_e32 v38, v38
	v_sub_u32_sdwa v5, v5, v31 dst_sel:DWORD dst_unused:UNUSED_PAD src0_sel:BYTE_3 src1_sel:DWORD
	v_cvt_f16_f32_e32 v31, v39
	v_cvt_f16_f32_e32 v39, v40
	;; [unrolled: 1-line block ×3, first 2 shown]
	v_sub_u32_sdwa v41, v10, v30 dst_sel:DWORD dst_unused:UNUSED_PAD src0_sel:BYTE_0 src1_sel:DWORD
	v_fma_mix_f32 v8, v34, v2, v8 op_sel:[0,1,0] op_sel_hi:[1,1,0]
	v_cvt_f16_f32_e32 v9, v9
	v_cvt_f32_i32_e32 v5, v5
	v_cvt_f32_i32_e32 v41, v41
	v_sub_u32_sdwa v42, v10, v30 dst_sel:DWORD dst_unused:UNUSED_PAD src0_sel:BYTE_1 src1_sel:DWORD
	v_fma_mix_f32 v8, v35, v3, v8 op_sel_hi:[1,1,0]
	v_cvt_f32_i32_e32 v42, v42
	v_sub_u32_sdwa v43, v10, v30 dst_sel:DWORD dst_unused:UNUSED_PAD src0_sel:BYTE_2 src1_sel:DWORD
	v_sub_u32_sdwa v44, v6, v30 dst_sel:DWORD dst_unused:UNUSED_PAD src0_sel:BYTE_0 src1_sel:DWORD
	v_sub_u32_sdwa v45, v6, v30 dst_sel:DWORD dst_unused:UNUSED_PAD src0_sel:BYTE_1 src1_sel:DWORD
	v_sub_u32_sdwa v46, v6, v30 dst_sel:DWORD dst_unused:UNUSED_PAD src0_sel:BYTE_2 src1_sel:DWORD
	v_fma_mix_f32 v4, v4, v3, v8 op_sel:[0,1,0] op_sel_hi:[1,1,0]
	v_fma_mix_f32 v8, v36, v0, 0 op_sel_hi:[1,1,0]
	v_cvt_f32_i32_e32 v43, v43
	v_sub_u32_sdwa v10, v10, v30 dst_sel:DWORD dst_unused:UNUSED_PAD src0_sel:BYTE_3 src1_sel:DWORD
	v_cvt_f32_i32_e32 v44, v44
	v_cvt_f32_i32_e32 v45, v45
	;; [unrolled: 1-line block ×3, first 2 shown]
	v_fma_mix_f32 v8, v37, v0, v8 op_sel:[0,1,0] op_sel_hi:[1,1,0]
	v_cvt_f32_i32_e32 v10, v10
	v_fma_mix_f32 v8, v38, v1, v8 op_sel_hi:[1,1,0]
	v_cvt_f16_f32_e32 v5, v5
	v_cvt_f16_f32_e32 v41, v41
	v_fma_mix_f32 v8, v9, v1, v8 op_sel:[0,1,0] op_sel_hi:[1,1,0]
	v_cvt_f16_f32_e32 v42, v42
	v_fma_mix_f32 v8, v31, v2, v8 op_sel_hi:[1,1,0]
	v_cvt_f16_f32_e32 v43, v43
	v_sub_u32_sdwa v6, v6, v30 dst_sel:DWORD dst_unused:UNUSED_PAD src0_sel:BYTE_3 src1_sel:DWORD
	v_cvt_f16_f32_e32 v30, v44
	v_cvt_f16_f32_e32 v44, v45
	v_cvt_f16_f32_e32 v45, v46
	v_sub_u32_sdwa v46, v11, v29 dst_sel:DWORD dst_unused:UNUSED_PAD src0_sel:BYTE_0 src1_sel:DWORD
	v_fma_mix_f32 v8, v39, v2, v8 op_sel:[0,1,0] op_sel_hi:[1,1,0]
	v_cvt_f16_f32_e32 v10, v10
	v_cvt_f32_i32_e32 v6, v6
	v_cvt_f32_i32_e32 v46, v46
	v_sub_u32_sdwa v47, v11, v29 dst_sel:DWORD dst_unused:UNUSED_PAD src0_sel:BYTE_1 src1_sel:DWORD
	v_fma_mix_f32 v8, v40, v3, v8 op_sel_hi:[1,1,0]
	v_cvt_f32_i32_e32 v47, v47
	v_sub_u32_sdwa v48, v11, v29 dst_sel:DWORD dst_unused:UNUSED_PAD src0_sel:BYTE_2 src1_sel:DWORD
	v_fma_mix_f32 v5, v5, v3, v8 op_sel:[0,1,0] op_sel_hi:[1,1,0]
	v_fma_mix_f32 v8, v41, v0, 0 op_sel_hi:[1,1,0]
	v_cvt_f32_i32_e32 v48, v48
	v_sub_u32_sdwa v11, v11, v29 dst_sel:DWORD dst_unused:UNUSED_PAD src0_sel:BYTE_3 src1_sel:DWORD
	v_fma_mix_f32 v8, v42, v0, v8 op_sel:[0,1,0] op_sel_hi:[1,1,0]
	v_cvt_f32_i32_e32 v11, v11
	v_sub_u32_sdwa v49, v7, v29 dst_sel:DWORD dst_unused:UNUSED_PAD src0_sel:BYTE_0 src1_sel:DWORD
	v_fma_mix_f32 v8, v43, v1, v8 op_sel_hi:[1,1,0]
	v_cvt_f16_f32_e32 v6, v6
	v_cvt_f16_f32_e32 v46, v46
	v_cvt_f32_i32_e32 v49, v49
	v_sub_u32_sdwa v50, v7, v29 dst_sel:DWORD dst_unused:UNUSED_PAD src0_sel:BYTE_1 src1_sel:DWORD
	v_fma_mix_f32 v8, v10, v1, v8 op_sel:[0,1,0] op_sel_hi:[1,1,0]
	v_cvt_f16_f32_e32 v47, v47
	v_cvt_f32_i32_e32 v50, v50
	v_sub_u32_sdwa v51, v7, v29 dst_sel:DWORD dst_unused:UNUSED_PAD src0_sel:BYTE_2 src1_sel:DWORD
	v_fma_mix_f32 v8, v30, v2, v8 op_sel_hi:[1,1,0]
	v_cvt_f16_f32_e32 v48, v48
	v_cvt_f32_i32_e32 v51, v51
	v_sub_u32_sdwa v7, v7, v29 dst_sel:DWORD dst_unused:UNUSED_PAD src0_sel:BYTE_3 src1_sel:DWORD
	v_fma_mix_f32 v8, v44, v2, v8 op_sel:[0,1,0] op_sel_hi:[1,1,0]
	v_cvt_f16_f32_e32 v11, v11
	v_cvt_f32_i32_e32 v7, v7
	v_fma_mix_f32 v8, v45, v3, v8 op_sel_hi:[1,1,0]
	v_cvt_f16_f32_e32 v29, v49
	v_fma_mix_f32 v6, v6, v3, v8 op_sel:[0,1,0] op_sel_hi:[1,1,0]
	v_fma_mix_f32 v8, v46, v0, 0 op_sel_hi:[1,1,0]
	v_cvt_f16_f32_e32 v49, v50
	v_fma_mix_f32 v0, v47, v0, v8 op_sel:[0,1,0] op_sel_hi:[1,1,0]
	v_cvt_f16_f32_e32 v50, v51
	v_fma_mix_f32 v0, v48, v1, v0 op_sel_hi:[1,1,0]
	v_cvt_f16_f32_e32 v7, v7
	v_fma_mix_f32 v0, v11, v1, v0 op_sel:[0,1,0] op_sel_hi:[1,1,0]
	v_fma_mixlo_f16 v4, v4, v18, 0 op_sel_hi:[0,1,0]
	v_fma_mix_f32 v0, v29, v2, v0 op_sel_hi:[1,1,0]
	v_fma_mixlo_f16 v5, v5, v18, 0 op_sel:[0,1,0] op_sel_hi:[0,1,0]
	v_fma_mix_f32 v0, v49, v2, v0 op_sel:[0,1,0] op_sel_hi:[1,1,0]
	v_fma_mixlo_f16 v6, v6, v19, 0 op_sel_hi:[0,1,0]
	v_fma_mix_f32 v0, v50, v3, v0 op_sel_hi:[1,1,0]
	v_add_f16_e32 v37, v13, v4
	v_fma_mix_f32 v0, v7, v3, v0 op_sel:[0,1,0] op_sel_hi:[1,1,0]
	v_add_f16_e32 v36, v14, v5
	v_fma_mixlo_f16 v0, v0, v19, 0 op_sel:[0,1,0] op_sel_hi:[0,1,0]
	v_add_f16_e32 v34, v15, v6
	v_add_f16_e32 v35, v12, v0
	s_cbranch_scc1 .LBB18_11
.LBB18_8:                               ; =>This Inner Loop Header: Depth=1
	s_cmp_lg_u32 s22, s8
	s_cbranch_scc1 .LBB18_7
; %bb.9:                                ;   in Loop: Header=BB18_8 Depth=1
	s_add_i32 s7, s7, 1
	s_mul_i32 s9, s7, s16
	s_ashr_i32 s17, s9, 31
	s_lshr_b32 s17, s17, 30
	s_add_i32 s17, s9, s17
	s_ashr_i32 s17, s17, 2
	v_add_u32_e32 v0, s17, v24
	v_ashrrev_i32_e32 v1, 31, v0
	v_lshl_add_u64 v[0:1], v[0:1], 2, s[10:11]
	global_load_dword v2, v[0:1], off
	v_add_u32_e32 v0, s9, v16
	v_ashrrev_i32_e32 v1, 31, v0
	v_lshl_add_u64 v[0:1], v[0:1], 1, s[12:13]
	global_load_dwordx2 v[18:19], v[0:1], off
	s_add_i32 s8, s8, s6
	s_waitcnt vmcnt(1)
	v_and_b32_e32 v17, 0xff, v2
	v_bfe_u32 v26, v2, 8, 8
	v_bfe_u32 v27, v2, 16, 8
	v_lshrrev_b32_e32 v28, 24, v2
	s_branch .LBB18_7
.LBB18_10:
	v_mov_b32_e32 v4, 0
	v_mov_b32_e32 v5, 0
	;; [unrolled: 1-line block ×3, first 2 shown]
	s_branch .LBB18_12
.LBB18_11:
	s_mov_b32 s0, 0x5040100
	v_perm_b32 v5, v36, v37, s0
	v_lshlrev_b32_e32 v4, 16, v35
.LBB18_12:
	s_mul_i32 s0, s16, s3
	v_add_u32_e32 v0, s0, v16
	v_ashrrev_i32_e32 v1, 31, v0
	v_lshl_add_u64 v[0:1], v[0:1], 1, s[14:15]
	global_load_dword v3, v[0:1], off
	s_mov_b64 s[0:1], 0
.LBB18_13:                              ; =>This Inner Loop Header: Depth=1
	s_waitcnt vmcnt(0)
	v_pk_add_f16 v2, v5, v3
	global_atomic_cmpswap v2, v[0:1], v[2:3], off sc0
	s_waitcnt vmcnt(0)
	v_cmp_eq_u32_e32 vcc, v3, v2
	s_or_b64 s[0:1], vcc, s[0:1]
	v_mov_b32_e32 v3, v2
	s_andn2_b64 exec, exec, s[0:1]
	s_cbranch_execnz .LBB18_13
; %bb.14:
	s_or_b64 exec, exec, s[0:1]
	global_load_dword v3, v[0:1], off offset:4
	v_or_b32_e32 v4, v4, v34
	s_mov_b64 s[0:1], 0
.LBB18_15:                              ; =>This Inner Loop Header: Depth=1
	s_waitcnt vmcnt(0)
	v_pk_add_f16 v2, v4, v3
	global_atomic_cmpswap v2, v[0:1], v[2:3], off offset:4 sc0
	s_waitcnt vmcnt(0)
	v_cmp_eq_u32_e32 vcc, v3, v2
	s_or_b64 s[0:1], vcc, s[0:1]
	v_mov_b32_e32 v3, v2
	s_andn2_b64 exec, exec, s[0:1]
	s_cbranch_execnz .LBB18_15
.LBB18_16:
	s_endpgm
	.section	.rodata,"a",@progbits
	.p2align	6, 0x0
	.amdhsa_kernel _ZN4vllm4gptq33gemm_half_q_half_gptq_8bit_kernelILb1ELi1EEEvPK6__halfPKjS6_S4_PS2_iiiibPKi
		.amdhsa_group_segment_fixed_size 256
		.amdhsa_private_segment_fixed_size 0
		.amdhsa_kernarg_size 72
		.amdhsa_user_sgpr_count 2
		.amdhsa_user_sgpr_dispatch_ptr 0
		.amdhsa_user_sgpr_queue_ptr 0
		.amdhsa_user_sgpr_kernarg_segment_ptr 1
		.amdhsa_user_sgpr_dispatch_id 0
		.amdhsa_user_sgpr_kernarg_preload_length 0
		.amdhsa_user_sgpr_kernarg_preload_offset 0
		.amdhsa_user_sgpr_private_segment_size 0
		.amdhsa_uses_dynamic_stack 0
		.amdhsa_enable_private_segment 0
		.amdhsa_system_sgpr_workgroup_id_x 1
		.amdhsa_system_sgpr_workgroup_id_y 1
		.amdhsa_system_sgpr_workgroup_id_z 1
		.amdhsa_system_sgpr_workgroup_info 0
		.amdhsa_system_vgpr_workitem_id 0
		.amdhsa_next_free_vgpr 68
		.amdhsa_next_free_sgpr 24
		.amdhsa_accum_offset 68
		.amdhsa_reserve_vcc 1
		.amdhsa_float_round_mode_32 0
		.amdhsa_float_round_mode_16_64 0
		.amdhsa_float_denorm_mode_32 3
		.amdhsa_float_denorm_mode_16_64 3
		.amdhsa_dx10_clamp 1
		.amdhsa_ieee_mode 1
		.amdhsa_fp16_overflow 0
		.amdhsa_tg_split 0
		.amdhsa_exception_fp_ieee_invalid_op 0
		.amdhsa_exception_fp_denorm_src 0
		.amdhsa_exception_fp_ieee_div_zero 0
		.amdhsa_exception_fp_ieee_overflow 0
		.amdhsa_exception_fp_ieee_underflow 0
		.amdhsa_exception_fp_ieee_inexact 0
		.amdhsa_exception_int_div_zero 0
	.end_amdhsa_kernel
	.section	.text._ZN4vllm4gptq33gemm_half_q_half_gptq_8bit_kernelILb1ELi1EEEvPK6__halfPKjS6_S4_PS2_iiiibPKi,"axG",@progbits,_ZN4vllm4gptq33gemm_half_q_half_gptq_8bit_kernelILb1ELi1EEEvPK6__halfPKjS6_S4_PS2_iiiibPKi,comdat
.Lfunc_end18:
	.size	_ZN4vllm4gptq33gemm_half_q_half_gptq_8bit_kernelILb1ELi1EEEvPK6__halfPKjS6_S4_PS2_iiiibPKi, .Lfunc_end18-_ZN4vllm4gptq33gemm_half_q_half_gptq_8bit_kernelILb1ELi1EEEvPK6__halfPKjS6_S4_PS2_iiiibPKi
                                        ; -- End function
	.set _ZN4vllm4gptq33gemm_half_q_half_gptq_8bit_kernelILb1ELi1EEEvPK6__halfPKjS6_S4_PS2_iiiibPKi.num_vgpr, 68
	.set _ZN4vllm4gptq33gemm_half_q_half_gptq_8bit_kernelILb1ELi1EEEvPK6__halfPKjS6_S4_PS2_iiiibPKi.num_agpr, 0
	.set _ZN4vllm4gptq33gemm_half_q_half_gptq_8bit_kernelILb1ELi1EEEvPK6__halfPKjS6_S4_PS2_iiiibPKi.numbered_sgpr, 24
	.set _ZN4vllm4gptq33gemm_half_q_half_gptq_8bit_kernelILb1ELi1EEEvPK6__halfPKjS6_S4_PS2_iiiibPKi.num_named_barrier, 0
	.set _ZN4vllm4gptq33gemm_half_q_half_gptq_8bit_kernelILb1ELi1EEEvPK6__halfPKjS6_S4_PS2_iiiibPKi.private_seg_size, 0
	.set _ZN4vllm4gptq33gemm_half_q_half_gptq_8bit_kernelILb1ELi1EEEvPK6__halfPKjS6_S4_PS2_iiiibPKi.uses_vcc, 1
	.set _ZN4vllm4gptq33gemm_half_q_half_gptq_8bit_kernelILb1ELi1EEEvPK6__halfPKjS6_S4_PS2_iiiibPKi.uses_flat_scratch, 0
	.set _ZN4vllm4gptq33gemm_half_q_half_gptq_8bit_kernelILb1ELi1EEEvPK6__halfPKjS6_S4_PS2_iiiibPKi.has_dyn_sized_stack, 0
	.set _ZN4vllm4gptq33gemm_half_q_half_gptq_8bit_kernelILb1ELi1EEEvPK6__halfPKjS6_S4_PS2_iiiibPKi.has_recursion, 0
	.set _ZN4vllm4gptq33gemm_half_q_half_gptq_8bit_kernelILb1ELi1EEEvPK6__halfPKjS6_S4_PS2_iiiibPKi.has_indirect_call, 0
	.section	.AMDGPU.csdata,"",@progbits
; Kernel info:
; codeLenInByte = 4432
; TotalNumSgprs: 30
; NumVgprs: 68
; NumAgprs: 0
; TotalNumVgprs: 68
; ScratchSize: 0
; MemoryBound: 0
; FloatMode: 240
; IeeeMode: 1
; LDSByteSize: 256 bytes/workgroup (compile time only)
; SGPRBlocks: 3
; VGPRBlocks: 8
; NumSGPRsForWavesPerEU: 30
; NumVGPRsForWavesPerEU: 68
; AccumOffset: 68
; Occupancy: 7
; WaveLimiterHint : 0
; COMPUTE_PGM_RSRC2:SCRATCH_EN: 0
; COMPUTE_PGM_RSRC2:USER_SGPR: 2
; COMPUTE_PGM_RSRC2:TRAP_HANDLER: 0
; COMPUTE_PGM_RSRC2:TGID_X_EN: 1
; COMPUTE_PGM_RSRC2:TGID_Y_EN: 1
; COMPUTE_PGM_RSRC2:TGID_Z_EN: 1
; COMPUTE_PGM_RSRC2:TIDIG_COMP_CNT: 0
; COMPUTE_PGM_RSRC3_GFX90A:ACCUM_OFFSET: 16
; COMPUTE_PGM_RSRC3_GFX90A:TG_SPLIT: 0
	.section	.text._ZN4vllm4gptq33gemm_half_q_half_gptq_2bit_kernelILb1ELi2EEEvPK6__halfPKjS6_S4_PS2_iiiibPKi,"axG",@progbits,_ZN4vllm4gptq33gemm_half_q_half_gptq_2bit_kernelILb1ELi2EEEvPK6__halfPKjS6_S4_PS2_iiiibPKi,comdat
	.protected	_ZN4vllm4gptq33gemm_half_q_half_gptq_2bit_kernelILb1ELi2EEEvPK6__halfPKjS6_S4_PS2_iiiibPKi ; -- Begin function _ZN4vllm4gptq33gemm_half_q_half_gptq_2bit_kernelILb1ELi2EEEvPK6__halfPKjS6_S4_PS2_iiiibPKi
	.globl	_ZN4vllm4gptq33gemm_half_q_half_gptq_2bit_kernelILb1ELi2EEEvPK6__halfPKjS6_S4_PS2_iiiibPKi
	.p2align	8
	.type	_ZN4vllm4gptq33gemm_half_q_half_gptq_2bit_kernelILb1ELi2EEEvPK6__halfPKjS6_S4_PS2_iiiibPKi,@function
_ZN4vllm4gptq33gemm_half_q_half_gptq_2bit_kernelILb1ELi2EEEvPK6__halfPKjS6_S4_PS2_iiiibPKi: ; @_ZN4vllm4gptq33gemm_half_q_half_gptq_2bit_kernelILb1ELi2EEEvPK6__halfPKjS6_S4_PS2_iiiibPKi
; %bb.0:
	s_load_dwordx8 s[8:15], s[0:1], 0x8
	s_load_dwordx4 s[16:19], s[0:1], 0x2c
	s_lshl_b32 s22, s4, 7
	s_add_i32 s4, s22, 0x80
	v_cvt_f64_u32_e32 v[2:3], s4
	s_lshl_b32 s3, s3, 1
	s_waitcnt lgkmcnt(0)
	v_cvt_f64_i32_e32 v[4:5], s17
	v_min_f64 v[2:3], v[2:3], v[4:5]
	v_cvt_i32_f64_e32 v1, v[2:3]
	v_add_u32_e32 v2, s22, v0
	v_readfirstlane_b32 s23, v1
	v_cmp_lt_u32_e32 vcc, v2, v1
	s_and_saveexec_b64 s[4:5], vcc
	s_cbranch_execz .LBB19_6
; %bb.1:
	s_load_dwordx2 s[20:21], s[0:1], 0x40
	s_load_dwordx2 s[6:7], s[0:1], 0x0
	v_mov_b32_e32 v3, 0
	v_mov_b64_e32 v[6:7], v[2:3]
	s_waitcnt lgkmcnt(0)
	s_cmp_lg_u64 s[20:21], 0
	s_cselect_b64 s[0:1], -1, 0
	s_cmp_eq_u64 s[20:21], 0
	v_lshl_add_u64 v[4:5], v[2:3], 2, s[20:21]
	s_cbranch_scc1 .LBB19_3
; %bb.2:
	global_load_dword v6, v[4:5], off
	s_waitcnt vmcnt(0)
	v_ashrrev_i32_e32 v7, 31, v6
.LBB19_3:
	s_mul_i32 s20, s3, s17
	s_ashr_i32 s21, s20, 31
	s_lshl_b64 s[24:25], s[20:21], 1
	s_add_u32 s24, s6, s24
	s_addc_u32 s25, s7, s25
	v_lshl_add_u64 v[6:7], v[6:7], 1, s[24:25]
	global_load_ushort v6, v[6:7], off
	v_lshlrev_b32_e32 v1, 1, v0
	s_andn2_b64 vcc, exec, s[0:1]
	s_waitcnt vmcnt(0)
	ds_write_b16 v1, v6
	s_cbranch_vccnz .LBB19_5
; %bb.4:
	global_load_dword v2, v[4:5], off
	s_waitcnt vmcnt(0)
	v_ashrrev_i32_e32 v3, 31, v2
.LBB19_5:
	s_add_i32 s0, s20, s17
	s_ashr_i32 s1, s0, 31
	s_lshl_b64 s[0:1], s[0:1], 1
	s_add_u32 s0, s6, s0
	s_addc_u32 s1, s7, s1
	v_lshl_add_u64 v[2:3], v[2:3], 1, s[0:1]
	global_load_ushort v2, v[2:3], off
	s_waitcnt vmcnt(0)
	ds_write_b16 v1, v2 offset:256
.LBB19_6:
	s_or_b64 exec, exec, s[4:5]
	v_lshlrev_b32_e32 v1, 2, v0
	v_lshl_add_u32 v4, s2, 9, v1
	v_cmp_gt_i32_e32 vcc, s16, v4
	s_and_saveexec_b64 s[0:1], vcc
	s_cbranch_execz .LBB19_20
; %bb.7:
	s_abs_i32 s0, s18
	v_cvt_f32_u32_e32 v1, s0
	s_mov_b32 s2, 0
	v_mov_b32_e32 v14, 0
	v_mov_b32_e32 v13, 0
	v_rcp_iflag_f32_e32 v1, v1
	v_mov_b32_e32 v11, 0
	s_cmp_ge_i32 s22, s23
	v_mov_b32_e32 v10, 0
	v_mul_f32_e32 v1, 0x4f7ffffe, v1
	v_cvt_u32_f32_e32 v1, v1
	s_waitcnt lgkmcnt(0)
	s_barrier
	v_readfirstlane_b32 s1, v1
	s_cbranch_scc1 .LBB19_12
; %bb.8:
	s_sub_i32 s7, 0, s0
	s_mul_i32 s7, s7, s1
	s_mul_hi_u32 s7, s1, s7
	s_abs_i32 s6, s17
	s_add_i32 s1, s1, s7
	s_ashr_i32 s4, s17, 31
	s_ashr_i32 s5, s18, 31
	s_mul_hi_u32 s1, s6, s1
	s_xor_b32 s4, s4, s5
	s_mul_i32 s5, s1, s0
	s_sub_i32 s5, s6, s5
	s_add_i32 s6, s1, 1
	s_sub_i32 s7, s5, s0
	s_cmp_ge_u32 s5, s0
	s_cselect_b32 s1, s6, s1
	s_cselect_b32 s5, s7, s5
	s_add_i32 s6, s1, 1
	s_cmp_ge_u32 s5, s0
	s_cselect_b32 s0, s6, s1
	s_xor_b32 s0, s0, s4
	s_sub_i32 s4, s0, s4
	v_cvt_f32_u32_e32 v1, s4
	s_bitcmp1_b32 s19, 0
	s_cselect_b64 s[0:1], -1, 0
	s_sub_i32 s5, 0, s4
	v_rcp_iflag_f32_e32 v1, v1
	s_xor_b64 s[0:1], s[0:1], -1
	v_ashrrev_i32_e32 v5, 31, v4
	v_lshrrev_b32_e32 v2, 28, v5
	v_mul_f32_e32 v1, 0x4f7ffffe, v1
	v_cvt_u32_f32_e32 v1, v1
	v_add_u32_e32 v2, v4, v2
	v_ashrrev_i32_e32 v12, 4, v2
	v_cndmask_b32_e64 v17, 0, 1, s[0:1]
	v_readfirstlane_b32 s6, v1
	s_mul_i32 s5, s5, s6
	s_mul_hi_u32 s5, s6, s5
	s_add_i32 s6, s6, s5
	s_mul_hi_u32 s5, s22, s6
	s_mul_i32 s6, s5, s4
	s_sub_i32 s6, s22, s6
	s_add_i32 s7, s5, 1
	s_sub_i32 s17, s6, s4
	s_cmp_ge_u32 s6, s4
	s_cselect_b32 s5, s7, s5
	s_cselect_b32 s6, s17, s6
	s_add_i32 s7, s5, 1
	s_cmp_ge_u32 s6, s4
	s_cselect_b32 s5, s7, s5
	s_mul_i32 s6, s5, s16
	s_ashr_i32 s7, s6, 31
	s_lshr_b32 s7, s7, 28
	s_add_i32 s7, s6, s7
	s_ashr_i32 s7, s7, 4
	v_add_u32_e32 v2, s7, v12
	v_ashrrev_i32_e32 v3, 31, v2
	v_lshl_add_u64 v[2:3], v[2:3], 2, s[10:11]
	global_load_dword v14, v[2:3], off
	v_add_u32_e32 v2, s6, v4
	v_ashrrev_i32_e32 v3, 31, v2
	v_lshl_add_u64 v[2:3], v[2:3], 1, s[12:13]
	global_load_dwordx2 v[6:7], v[2:3], off
	s_lshr_b32 s0, s22, 4
	s_mul_i32 s0, s16, s0
	s_ashr_i32 s1, s0, 31
	s_add_i32 s21, s4, s22
	s_ashr_i32 s17, s16, 31
	s_lshl_b64 s[0:1], s[0:1], 2
	s_add_u32 s8, s8, s0
	s_addc_u32 s9, s9, s1
	v_lshlrev_b32_e32 v2, 3, v0
	v_lshl_add_u64 v[0:1], v[4:5], 2, s[8:9]
	v_and_b32_e32 v16, 24, v2
	v_lshl_add_u64 v[8:9], v[0:1], 0, 8
	v_mov_b32_e32 v10, 0
	s_mov_b32 s6, 0x10001
	v_mov_b32_e32 v15, 0xe400e400
	s_movk_i32 s7, 0x3400
	s_movk_i32 s18, 0x2c00
	;; [unrolled: 1-line block ×3, first 2 shown]
	s_mov_b32 s20, 0x7060302
	v_mov_b32_e32 v11, 0
	v_mov_b32_e32 v13, 0
	s_lshl_b64 s[0:1], s[16:17], 2
	s_waitcnt vmcnt(1)
	v_lshrrev_b32_e32 v0, v2, v14
	v_bfe_u32 v5, v14, v16, 2
	v_bfe_u32 v18, v0, 2, 2
	;; [unrolled: 1-line block ×4, first 2 shown]
	v_mov_b32_e32 v14, 0
	s_branch .LBB19_10
.LBB19_9:                               ;   in Loop: Header=BB19_10 Depth=1
	global_load_dwordx4 v[0:3], v[8:9], off offset:-8
	v_add_u32_e32 v21, v5, v17
	v_add_u32_e32 v22, v18, v17
	v_cvt_f32_i32_e32 v25, v21
	v_cvt_f32_i32_e32 v26, v22
	v_add_u32_e32 v23, v19, v17
	v_cvt_f32_i32_e32 v27, v23
	v_cvt_f16_f32_e32 v25, v25
	v_cvt_f16_f32_e32 v26, v26
	v_add_u32_e32 v24, v20, v17
	v_cvt_f32_i32_e32 v28, v24
	v_and_b32_e32 v21, 0x1bff, v21
	v_cvt_f16_f32_e32 v27, v27
	v_sub_f16_e32 v29, 0xdc00, v25
	v_sub_f16_e32 v30, 0xd400, v25
	;; [unrolled: 1-line block ×3, first 2 shown]
	v_and_b32_e32 v22, 0x1bff, v22
	v_mad_u32_u24 v21, v21, s6, v15
	v_sub_f16_e32 v31, 0xdc00, v26
	v_sub_f16_e32 v32, 0xd400, v26
	;; [unrolled: 1-line block ×3, first 2 shown]
	v_mul_u32_u24_e32 v25, 0x10001, v25
	v_mad_u32_u24 v22, v22, s6, v15
	v_mul_u32_u24_e32 v29, 0x10001, v29
	v_mul_u32_u24_e32 v32, 0x10001, v32
	v_mul_u32_u24_e32 v26, 0x10001, v26
	v_cvt_f16_f32_e32 v28, v28
	v_mul_u32_u24_e32 v30, 0x10001, v30
	v_mul_u32_u24_e32 v31, 0x10001, v31
	v_and_b32_e32 v23, 0x1bff, v23
	v_sub_f16_e32 v33, 0xdc00, v27
	v_sub_f16_e32 v34, 0xd400, v27
	;; [unrolled: 1-line block ×3, first 2 shown]
	v_mad_u32_u24 v23, v23, s6, v15
	v_mul_u32_u24_e32 v33, 0x10001, v33
	v_mul_u32_u24_e32 v34, 0x10001, v34
	;; [unrolled: 1-line block ×3, first 2 shown]
	v_sub_f16_e32 v36, 0xd400, v28
	v_and_b32_e32 v24, 0x1bff, v24
	v_sub_f16_e32 v35, 0xdc00, v28
	v_mul_u32_u24_e32 v36, 0x10001, v36
	v_mad_u32_u24 v24, v24, s6, v15
	v_mul_u32_u24_e32 v35, 0x10001, v35
	v_sub_f16_e32 v28, 0xcc00, v28
	v_mul_u32_u24_e32 v28, 0x10001, v28
	s_add_i32 s22, s22, 16
	v_lshl_add_u64 v[8:9], v[8:9], 0, s[0:1]
	s_waitcnt vmcnt(0)
	v_and_b32_e32 v37, 0x30003, v0
	v_and_b32_e32 v38, 0xc000c, v0
	;; [unrolled: 1-line block ×4, first 2 shown]
	v_lshrrev_b32_e32 v0, 8, v0
	v_and_b32_e32 v41, 0x30003, v1
	v_and_b32_e32 v42, 0xc000c, v1
	v_and_b32_e32 v43, 0x300030, v1
	v_and_b32_e32 v44, 0xc000c0, v1
	v_lshrrev_b32_e32 v1, 8, v1
	v_and_b32_e32 v45, 0x30003, v0
	v_and_b32_e32 v46, 0xc000c, v0
	;; [unrolled: 1-line block ×4, first 2 shown]
	v_or_b32_e32 v37, 0x64006400, v37
	v_and_b32_e32 v48, 0x30003, v1
	v_and_b32_e32 v49, 0xc000c, v1
	;; [unrolled: 1-line block ×3, first 2 shown]
	v_or_b32_e32 v45, 0x64006400, v45
	v_or_b32_e32 v0, 0x64006400, v0
	v_and_b32_e32 v1, 0xc000c0, v1
	v_or_b32_e32 v38, 0x64006400, v38
	v_or_b32_e32 v40, 0x64006400, v40
	;; [unrolled: 1-line block ×6, first 2 shown]
	v_pk_add_f16 v37, v21, v37
	v_or_b32_e32 v48, 0x64006400, v48
	v_pk_add_f16 v21, v21, v45
	v_pk_fma_f16 v45, v0, s19, v25 op_sel_hi:[1,0,1]
	v_or_b32_e32 v0, 0x64006400, v50
	v_or_b32_e32 v1, 0x64006400, v1
	;; [unrolled: 1-line block ×5, first 2 shown]
	v_pk_fma_f16 v38, v38, s7, v29 op_sel_hi:[1,0,1]
	v_pk_fma_f16 v40, v40, s19, v25 op_sel_hi:[1,0,1]
	v_or_b32_e32 v49, 0x64006400, v49
	v_pk_fma_f16 v29, v46, s7, v29 op_sel_hi:[1,0,1]
	v_pk_add_f16 v41, v22, v41
	v_pk_fma_f16 v43, v43, s18, v32 op_sel_hi:[1,0,1]
	v_pk_fma_f16 v44, v44, s19, v26 op_sel_hi:[1,0,1]
	v_pk_add_f16 v46, v22, v48
	v_pk_fma_f16 v32, v0, s18, v32 op_sel_hi:[1,0,1]
	v_pk_fma_f16 v26, v1, s19, v26 op_sel_hi:[1,0,1]
	v_and_b32_e32 v0, 0x30003, v2
	v_and_b32_e32 v1, 0xc000c, v2
	;; [unrolled: 1-line block ×4, first 2 shown]
	v_lshrrev_b32_e32 v2, 8, v2
	v_pk_fma_f16 v39, v39, s18, v30 op_sel_hi:[1,0,1]
	v_pk_fma_f16 v30, v47, s18, v30 op_sel_hi:[1,0,1]
	;; [unrolled: 1-line block ×4, first 2 shown]
	v_and_b32_e32 v47, 0x30003, v2
	v_and_b32_e32 v48, 0xc000c, v2
	;; [unrolled: 1-line block ×4, first 2 shown]
	v_or_b32_e32 v0, 0x64006400, v0
	v_or_b32_e32 v1, 0x64006400, v1
	;; [unrolled: 1-line block ×6, first 2 shown]
	v_pk_add_f16 v50, v23, v0
	v_pk_fma_f16 v51, v1, s7, v33 op_sel_hi:[1,0,1]
	v_pk_fma_f16 v52, v22, s18, v34 op_sel_hi:[1,0,1]
	;; [unrolled: 1-line block ×4, first 2 shown]
	v_and_b32_e32 v0, 0x30003, v3
	v_and_b32_e32 v1, 0xc000c, v3
	;; [unrolled: 1-line block ×4, first 2 shown]
	v_lshrrev_b32_e32 v3, 8, v3
	v_pk_fma_f16 v33, v48, s7, v33 op_sel_hi:[1,0,1]
	v_and_b32_e32 v48, 0x300030, v3
	v_or_b32_e32 v2, 0x64006400, v2
	v_or_b32_e32 v48, 0x64006400, v48
	;; [unrolled: 1-line block ×5, first 2 shown]
	v_pk_fma_f16 v55, v2, s18, v36 op_sel_hi:[1,0,1]
	v_pk_fma_f16 v36, v48, s18, v36 op_sel_hi:[1,0,1]
	v_mov_b32_e32 v48, s2
	v_pk_fma_f16 v34, v49, s18, v34 op_sel_hi:[1,0,1]
	v_pk_add_f16 v49, v24, v0
	v_pk_fma_f16 v54, v1, s7, v35 op_sel_hi:[1,0,1]
	ds_read2_b32 v[0:1], v48 offset1:1
	v_or_b32_e32 v47, 0x64006400, v47
	v_pk_add_f16 v47, v23, v47
	v_and_b32_e32 v23, 0x30003, v3
	v_and_b32_e32 v25, 0xc000c, v3
	;; [unrolled: 1-line block ×3, first 2 shown]
	v_or_b32_e32 v22, 0x64006400, v22
	v_or_b32_e32 v23, 0x64006400, v23
	;; [unrolled: 1-line block ×4, first 2 shown]
	v_pk_fma_f16 v56, v22, s19, v28 op_sel_hi:[1,0,1]
	v_pk_add_f16 v57, v24, v23
	v_pk_fma_f16 v35, v25, s7, v35 op_sel_hi:[1,0,1]
	v_pk_fma_f16 v28, v3, s19, v28 op_sel_hi:[1,0,1]
	ds_read2_b32 v[2:3], v48 offset0:2 offset1:3
	ds_read2_b32 v[22:23], v48 offset0:4 offset1:5
	;; [unrolled: 1-line block ×3, first 2 shown]
	s_waitcnt lgkmcnt(3)
	v_pk_fma_f16 v58, v37, v0, 0
	v_pk_fma_f16 v59, v41, v0, 0
	;; [unrolled: 1-line block ×7, first 2 shown]
	s_waitcnt lgkmcnt(2)
	v_pk_fma_f16 v0, v55, v2, v0
	v_pk_fma_f16 v60, v51, v1, v60
	;; [unrolled: 1-line block ×4, first 2 shown]
	s_waitcnt lgkmcnt(1)
	v_pk_fma_f16 v0, v57, v22, v0
	v_pk_fma_f16 v59, v43, v2, v59
	;; [unrolled: 1-line block ×7, first 2 shown]
	s_waitcnt lgkmcnt(0)
	v_pk_fma_f16 v2, v36, v24, v0
	ds_read2_b32 v[0:1], v48 offset0:64 offset1:65
	v_pk_fma_f16 v58, v21, v22, v58
	v_pk_fma_f16 v59, v46, v22, v59
	;; [unrolled: 1-line block ×13, first 2 shown]
	ds_read2_b32 v[2:3], v48 offset0:66 offset1:67
	ds_read2_b32 v[22:23], v48 offset0:68 offset1:69
	;; [unrolled: 1-line block ×3, first 2 shown]
	s_waitcnt lgkmcnt(3)
	v_pk_fma_f16 v37, v37, v0, 0
	s_add_i32 s2, s2, 32
	v_pk_fma_f16 v37, v38, v1, v37
	s_cmp_ge_i32 s22, s23
	s_waitcnt lgkmcnt(2)
	v_pk_fma_f16 v37, v39, v2, v37
	s_nop 0
	v_pk_fma_f16 v37, v40, v3, v37
	s_waitcnt lgkmcnt(1)
	v_pk_fma_f16 v21, v21, v22, v37
	s_nop 0
	v_pk_fma_f16 v21, v29, v23, v21
	v_pk_fma_f16 v29, v41, v0, 0
	s_waitcnt lgkmcnt(0)
	v_pk_fma_f16 v21, v30, v24, v21
	v_pk_fma_f16 v29, v42, v1, v29
	v_perm_b32 v30, v59, v58, s20
	v_pk_fma_f16 v29, v43, v2, v29
	v_pk_fma_f16 v21, v45, v25, v21
	;; [unrolled: 1-line block ×3, first 2 shown]
	s_nop 0
	v_pk_fma_f16 v29, v46, v22, v29
	s_nop 0
	v_pk_fma_f16 v29, v31, v23, v29
	;; [unrolled: 2-line block ×4, first 2 shown]
	v_pack_b32_f16 v29, v58, v59
	v_pk_add_f16 v29, v29, v30
	s_nop 0
	v_pk_fma_f16 v14, v29, v6, v14
	v_pack_b32_f16 v29, v21, v26
	v_perm_b32 v21, v26, v21, s20
	v_pk_add_f16 v21, v29, v21
	s_nop 0
	v_pk_fma_f16 v11, v21, v6, v11
	v_pk_fma_f16 v21, v50, v0, 0
	;; [unrolled: 1-line block ×15, first 2 shown]
	v_pack_b32_f16 v1, v60, v61
	v_perm_b32 v2, v61, v60, s20
	v_pk_fma_f16 v21, v27, v25, v21
	v_pk_fma_f16 v0, v28, v25, v0
	v_pk_add_f16 v1, v1, v2
	s_nop 0
	v_pk_fma_f16 v13, v1, v7, v13
	v_pack_b32_f16 v1, v21, v0
	v_perm_b32 v0, v0, v21, s20
	v_pk_add_f16 v0, v1, v0
	s_nop 0
	v_pk_fma_f16 v10, v0, v7, v10
	s_cbranch_scc1 .LBB19_12
.LBB19_10:                              ; =>This Inner Loop Header: Depth=1
	s_cmp_lg_u32 s22, s21
	s_cbranch_scc1 .LBB19_9
; %bb.11:                               ;   in Loop: Header=BB19_10 Depth=1
	s_add_i32 s5, s5, 1
	s_mul_i32 s8, s5, s16
	s_ashr_i32 s9, s8, 31
	s_lshr_b32 s9, s9, 28
	s_add_i32 s9, s8, s9
	s_ashr_i32 s9, s9, 4
	v_add_u32_e32 v0, s9, v12
	v_ashrrev_i32_e32 v1, 31, v0
	v_lshl_add_u64 v[0:1], v[0:1], 2, s[10:11]
	global_load_dword v2, v[0:1], off
	v_add_u32_e32 v0, s8, v4
	v_ashrrev_i32_e32 v1, 31, v0
	v_lshl_add_u64 v[0:1], v[0:1], 1, s[12:13]
	global_load_dwordx2 v[6:7], v[0:1], off
	s_add_i32 s21, s21, s4
	s_waitcnt vmcnt(1)
	v_lshrrev_b32_e32 v0, v16, v2
	v_bfe_u32 v5, v2, v16, 2
	v_bfe_u32 v18, v0, 2, 2
	v_bfe_u32 v19, v0, 4, 2
	v_bfe_u32 v20, v0, 6, 2
	s_branch .LBB19_9
.LBB19_12:
	s_mul_i32 s3, s3, s16
	v_add_u32_e32 v0, s3, v4
	v_ashrrev_i32_e32 v1, 31, v0
	v_lshl_add_u64 v[2:3], v[0:1], 1, s[14:15]
	global_load_dword v5, v[2:3], off
	s_mov_b64 s[0:1], 0
.LBB19_13:                              ; =>This Inner Loop Header: Depth=1
	s_waitcnt vmcnt(0)
	v_pk_add_f16 v4, v14, v5
	global_atomic_cmpswap v1, v[2:3], v[4:5], off sc0
	s_waitcnt vmcnt(0)
	v_cmp_eq_u32_e32 vcc, v5, v1
	s_or_b64 s[0:1], vcc, s[0:1]
	v_mov_b32_e32 v5, v1
	s_andn2_b64 exec, exec, s[0:1]
	s_cbranch_execnz .LBB19_13
; %bb.14:
	s_or_b64 exec, exec, s[0:1]
	global_load_dword v5, v[2:3], off offset:4
	s_mov_b64 s[0:1], 0
.LBB19_15:                              ; =>This Inner Loop Header: Depth=1
	s_waitcnt vmcnt(0)
	v_pk_add_f16 v4, v13, v5
	global_atomic_cmpswap v1, v[2:3], v[4:5], off offset:4 sc0
	s_waitcnt vmcnt(0)
	v_cmp_eq_u32_e32 vcc, v5, v1
	s_or_b64 s[0:1], vcc, s[0:1]
	v_mov_b32_e32 v5, v1
	s_andn2_b64 exec, exec, s[0:1]
	s_cbranch_execnz .LBB19_15
; %bb.16:
	s_or_b64 exec, exec, s[0:1]
	v_add_u32_e32 v0, s16, v0
	v_ashrrev_i32_e32 v1, 31, v0
	v_lshl_add_u64 v[0:1], v[0:1], 1, s[14:15]
	global_load_dword v3, v[0:1], off
	s_mov_b64 s[0:1], 0
.LBB19_17:                              ; =>This Inner Loop Header: Depth=1
	s_waitcnt vmcnt(0)
	v_pk_add_f16 v2, v11, v3
	global_atomic_cmpswap v2, v[0:1], v[2:3], off sc0
	s_waitcnt vmcnt(0)
	v_cmp_eq_u32_e32 vcc, v3, v2
	s_or_b64 s[0:1], vcc, s[0:1]
	v_mov_b32_e32 v3, v2
	s_andn2_b64 exec, exec, s[0:1]
	s_cbranch_execnz .LBB19_17
; %bb.18:
	s_or_b64 exec, exec, s[0:1]
	global_load_dword v3, v[0:1], off offset:4
	s_mov_b64 s[0:1], 0
.LBB19_19:                              ; =>This Inner Loop Header: Depth=1
	s_waitcnt vmcnt(0)
	v_pk_add_f16 v2, v10, v3
	global_atomic_cmpswap v2, v[0:1], v[2:3], off offset:4 sc0
	s_waitcnt vmcnt(0)
	v_cmp_eq_u32_e32 vcc, v3, v2
	s_or_b64 s[0:1], vcc, s[0:1]
	v_mov_b32_e32 v3, v2
	s_andn2_b64 exec, exec, s[0:1]
	s_cbranch_execnz .LBB19_19
.LBB19_20:
	s_endpgm
	.section	.rodata,"a",@progbits
	.p2align	6, 0x0
	.amdhsa_kernel _ZN4vllm4gptq33gemm_half_q_half_gptq_2bit_kernelILb1ELi2EEEvPK6__halfPKjS6_S4_PS2_iiiibPKi
		.amdhsa_group_segment_fixed_size 512
		.amdhsa_private_segment_fixed_size 0
		.amdhsa_kernarg_size 72
		.amdhsa_user_sgpr_count 2
		.amdhsa_user_sgpr_dispatch_ptr 0
		.amdhsa_user_sgpr_queue_ptr 0
		.amdhsa_user_sgpr_kernarg_segment_ptr 1
		.amdhsa_user_sgpr_dispatch_id 0
		.amdhsa_user_sgpr_kernarg_preload_length 0
		.amdhsa_user_sgpr_kernarg_preload_offset 0
		.amdhsa_user_sgpr_private_segment_size 0
		.amdhsa_uses_dynamic_stack 0
		.amdhsa_enable_private_segment 0
		.amdhsa_system_sgpr_workgroup_id_x 1
		.amdhsa_system_sgpr_workgroup_id_y 1
		.amdhsa_system_sgpr_workgroup_id_z 1
		.amdhsa_system_sgpr_workgroup_info 0
		.amdhsa_system_vgpr_workitem_id 0
		.amdhsa_next_free_vgpr 62
		.amdhsa_next_free_sgpr 26
		.amdhsa_accum_offset 64
		.amdhsa_reserve_vcc 1
		.amdhsa_float_round_mode_32 0
		.amdhsa_float_round_mode_16_64 0
		.amdhsa_float_denorm_mode_32 3
		.amdhsa_float_denorm_mode_16_64 3
		.amdhsa_dx10_clamp 1
		.amdhsa_ieee_mode 1
		.amdhsa_fp16_overflow 0
		.amdhsa_tg_split 0
		.amdhsa_exception_fp_ieee_invalid_op 0
		.amdhsa_exception_fp_denorm_src 0
		.amdhsa_exception_fp_ieee_div_zero 0
		.amdhsa_exception_fp_ieee_overflow 0
		.amdhsa_exception_fp_ieee_underflow 0
		.amdhsa_exception_fp_ieee_inexact 0
		.amdhsa_exception_int_div_zero 0
	.end_amdhsa_kernel
	.section	.text._ZN4vllm4gptq33gemm_half_q_half_gptq_2bit_kernelILb1ELi2EEEvPK6__halfPKjS6_S4_PS2_iiiibPKi,"axG",@progbits,_ZN4vllm4gptq33gemm_half_q_half_gptq_2bit_kernelILb1ELi2EEEvPK6__halfPKjS6_S4_PS2_iiiibPKi,comdat
.Lfunc_end19:
	.size	_ZN4vllm4gptq33gemm_half_q_half_gptq_2bit_kernelILb1ELi2EEEvPK6__halfPKjS6_S4_PS2_iiiibPKi, .Lfunc_end19-_ZN4vllm4gptq33gemm_half_q_half_gptq_2bit_kernelILb1ELi2EEEvPK6__halfPKjS6_S4_PS2_iiiibPKi
                                        ; -- End function
	.set _ZN4vllm4gptq33gemm_half_q_half_gptq_2bit_kernelILb1ELi2EEEvPK6__halfPKjS6_S4_PS2_iiiibPKi.num_vgpr, 62
	.set _ZN4vllm4gptq33gemm_half_q_half_gptq_2bit_kernelILb1ELi2EEEvPK6__halfPKjS6_S4_PS2_iiiibPKi.num_agpr, 0
	.set _ZN4vllm4gptq33gemm_half_q_half_gptq_2bit_kernelILb1ELi2EEEvPK6__halfPKjS6_S4_PS2_iiiibPKi.numbered_sgpr, 26
	.set _ZN4vllm4gptq33gemm_half_q_half_gptq_2bit_kernelILb1ELi2EEEvPK6__halfPKjS6_S4_PS2_iiiibPKi.num_named_barrier, 0
	.set _ZN4vllm4gptq33gemm_half_q_half_gptq_2bit_kernelILb1ELi2EEEvPK6__halfPKjS6_S4_PS2_iiiibPKi.private_seg_size, 0
	.set _ZN4vllm4gptq33gemm_half_q_half_gptq_2bit_kernelILb1ELi2EEEvPK6__halfPKjS6_S4_PS2_iiiibPKi.uses_vcc, 1
	.set _ZN4vllm4gptq33gemm_half_q_half_gptq_2bit_kernelILb1ELi2EEEvPK6__halfPKjS6_S4_PS2_iiiibPKi.uses_flat_scratch, 0
	.set _ZN4vllm4gptq33gemm_half_q_half_gptq_2bit_kernelILb1ELi2EEEvPK6__halfPKjS6_S4_PS2_iiiibPKi.has_dyn_sized_stack, 0
	.set _ZN4vllm4gptq33gemm_half_q_half_gptq_2bit_kernelILb1ELi2EEEvPK6__halfPKjS6_S4_PS2_iiiibPKi.has_recursion, 0
	.set _ZN4vllm4gptq33gemm_half_q_half_gptq_2bit_kernelILb1ELi2EEEvPK6__halfPKjS6_S4_PS2_iiiibPKi.has_indirect_call, 0
	.section	.AMDGPU.csdata,"",@progbits
; Kernel info:
; codeLenInByte = 3096
; TotalNumSgprs: 32
; NumVgprs: 62
; NumAgprs: 0
; TotalNumVgprs: 62
; ScratchSize: 0
; MemoryBound: 0
; FloatMode: 240
; IeeeMode: 1
; LDSByteSize: 512 bytes/workgroup (compile time only)
; SGPRBlocks: 3
; VGPRBlocks: 7
; NumSGPRsForWavesPerEU: 32
; NumVGPRsForWavesPerEU: 62
; AccumOffset: 64
; Occupancy: 8
; WaveLimiterHint : 0
; COMPUTE_PGM_RSRC2:SCRATCH_EN: 0
; COMPUTE_PGM_RSRC2:USER_SGPR: 2
; COMPUTE_PGM_RSRC2:TRAP_HANDLER: 0
; COMPUTE_PGM_RSRC2:TGID_X_EN: 1
; COMPUTE_PGM_RSRC2:TGID_Y_EN: 1
; COMPUTE_PGM_RSRC2:TGID_Z_EN: 1
; COMPUTE_PGM_RSRC2:TIDIG_COMP_CNT: 0
; COMPUTE_PGM_RSRC3_GFX90A:ACCUM_OFFSET: 15
; COMPUTE_PGM_RSRC3_GFX90A:TG_SPLIT: 0
	.section	.text._ZN4vllm4gptq33gemm_half_q_half_gptq_3bit_kernelILb1ELi2EEEvPK6__halfPKjS6_S4_PS2_iiiibPKi,"axG",@progbits,_ZN4vllm4gptq33gemm_half_q_half_gptq_3bit_kernelILb1ELi2EEEvPK6__halfPKjS6_S4_PS2_iiiibPKi,comdat
	.protected	_ZN4vllm4gptq33gemm_half_q_half_gptq_3bit_kernelILb1ELi2EEEvPK6__halfPKjS6_S4_PS2_iiiibPKi ; -- Begin function _ZN4vllm4gptq33gemm_half_q_half_gptq_3bit_kernelILb1ELi2EEEvPK6__halfPKjS6_S4_PS2_iiiibPKi
	.globl	_ZN4vllm4gptq33gemm_half_q_half_gptq_3bit_kernelILb1ELi2EEEvPK6__halfPKjS6_S4_PS2_iiiibPKi
	.p2align	8
	.type	_ZN4vllm4gptq33gemm_half_q_half_gptq_3bit_kernelILb1ELi2EEEvPK6__halfPKjS6_S4_PS2_iiiibPKi,@function
_ZN4vllm4gptq33gemm_half_q_half_gptq_3bit_kernelILb1ELi2EEEvPK6__halfPKjS6_S4_PS2_iiiibPKi: ; @_ZN4vllm4gptq33gemm_half_q_half_gptq_3bit_kernelILb1ELi2EEEvPK6__halfPKjS6_S4_PS2_iiiibPKi
; %bb.0:
	s_load_dwordx8 s[8:15], s[0:1], 0x8
	s_load_dwordx4 s[16:19], s[0:1], 0x2c
	s_lshl_b32 s27, s4, 7
	s_lshl_b32 s26, s3, 1
	s_add_i32 s3, s27, 0x80
	v_cvt_f64_u32_e32 v[2:3], s3
	s_waitcnt lgkmcnt(0)
	v_cvt_f64_i32_e32 v[4:5], s17
	v_min_f64 v[2:3], v[2:3], v[4:5]
	v_cvt_i32_f64_e32 v1, v[2:3]
	v_add_u32_e32 v2, s27, v0
	v_readfirstlane_b32 s28, v1
	v_cmp_lt_u32_e32 vcc, v2, v1
	s_and_saveexec_b64 s[4:5], vcc
	s_cbranch_execz .LBB20_6
; %bb.1:
	s_load_dwordx2 s[20:21], s[0:1], 0x40
	s_load_dwordx2 s[6:7], s[0:1], 0x0
	v_mov_b32_e32 v3, 0
	v_mov_b64_e32 v[6:7], v[2:3]
	s_waitcnt lgkmcnt(0)
	s_cmp_lg_u64 s[20:21], 0
	s_cselect_b64 s[0:1], -1, 0
	s_cmp_eq_u64 s[20:21], 0
	v_lshl_add_u64 v[4:5], v[2:3], 2, s[20:21]
	s_cbranch_scc1 .LBB20_3
; %bb.2:
	global_load_dword v6, v[4:5], off
	s_waitcnt vmcnt(0)
	v_ashrrev_i32_e32 v7, 31, v6
.LBB20_3:
	s_mul_i32 s20, s26, s17
	s_ashr_i32 s21, s20, 31
	s_lshl_b64 s[22:23], s[20:21], 1
	s_add_u32 s22, s6, s22
	s_addc_u32 s23, s7, s23
	v_lshl_add_u64 v[6:7], v[6:7], 1, s[22:23]
	global_load_ushort v6, v[6:7], off
	v_lshlrev_b32_e32 v1, 1, v0
	s_andn2_b64 vcc, exec, s[0:1]
	s_waitcnt vmcnt(0)
	ds_write_b16 v1, v6
	s_cbranch_vccnz .LBB20_5
; %bb.4:
	global_load_dword v2, v[4:5], off
	s_waitcnt vmcnt(0)
	v_ashrrev_i32_e32 v3, 31, v2
.LBB20_5:
	s_add_i32 s0, s20, s17
	s_ashr_i32 s1, s0, 31
	s_lshl_b64 s[0:1], s[0:1], 1
	s_add_u32 s0, s6, s0
	s_addc_u32 s1, s7, s1
	v_lshl_add_u64 v[2:3], v[2:3], 1, s[0:1]
	global_load_ushort v2, v[2:3], off
	s_waitcnt vmcnt(0)
	ds_write_b16 v1, v2 offset:256
.LBB20_6:
	s_or_b64 exec, exec, s[4:5]
	v_lshlrev_b32_e32 v0, 2, v0
	v_lshl_add_u32 v12, s2, 9, v0
	v_cmp_gt_i32_e32 vcc, s16, v12
	s_and_saveexec_b64 s[0:1], vcc
	s_cbranch_execz .LBB20_52
; %bb.7:
	s_abs_i32 s0, s18
	v_cvt_f32_u32_e32 v1, s0
	s_sub_i32 s3, 0, s0
	s_abs_i32 s2, s17
	s_xor_b32 s1, s17, s18
	v_rcp_iflag_f32_e32 v1, v1
	s_ashr_i32 s1, s1, 31
	v_and_b32_e32 v2, 28, v0
	v_cmp_lt_u32_e32 vcc, 4, v2
	v_mul_f32_e32 v1, 0x4f7ffffe, v1
	v_cvt_u32_f32_e32 v1, v1
	s_waitcnt lgkmcnt(0)
	s_barrier
	v_readfirstlane_b32 s4, v1
	s_mul_i32 s3, s3, s4
	s_mul_hi_u32 s3, s4, s3
	s_add_i32 s4, s4, s3
	s_mul_hi_u32 s3, s2, s4
	s_mul_i32 s4, s3, s0
	s_sub_i32 s2, s2, s4
	s_add_i32 s5, s3, 1
	s_sub_i32 s4, s2, s0
	s_cmp_ge_u32 s2, s0
	s_cselect_b32 s3, s5, s3
	s_cselect_b32 s2, s4, s2
	s_add_i32 s4, s3, 1
	s_cmp_ge_u32 s2, s0
	s_cselect_b32 s0, s4, s3
	s_xor_b32 s0, s0, s1
	s_sub_i32 s29, s0, s1
	v_cvt_f32_u32_e32 v1, s29
	s_sub_i32 s0, 0, s29
                                        ; implicit-def: $vgpr3
                                        ; implicit-def: $vgpr0
	v_rcp_iflag_f32_e32 v1, v1
	s_nop 0
	v_mul_f32_e32 v1, 0x4f7ffffe, v1
	v_cvt_u32_f32_e32 v1, v1
	s_nop 0
	v_readfirstlane_b32 s1, v1
	s_mul_i32 s0, s0, s1
	s_mul_hi_u32 s0, s1, s0
	s_add_i32 s1, s1, s0
	s_mul_hi_u32 s0, s27, s1
	s_mul_i32 s1, s0, s29
	s_sub_i32 s1, s27, s1
	s_add_i32 s2, s0, 1
	s_sub_i32 s3, s1, s29
	s_cmp_ge_u32 s1, s29
	s_cselect_b32 s0, s2, s0
	s_cselect_b32 s1, s3, s1
	s_add_i32 s2, s0, 1
	s_cmp_ge_u32 s1, s29
	s_cselect_b32 s30, s2, s0
	s_and_saveexec_b64 s[0:1], vcc
	s_xor_b64 s[2:3], exec, s[0:1]
	s_cbranch_execz .LBB20_21
; %bb.8:
	v_cmp_ne_u32_e64 s[0:1], 8, v2
                                        ; implicit-def: $vgpr3
                                        ; implicit-def: $vgpr0
	s_and_saveexec_b64 s[4:5], s[0:1]
	s_xor_b64 s[4:5], exec, s[4:5]
	s_cbranch_execz .LBB20_18
; %bb.9:
	v_cmp_lt_u32_e64 s[0:1], 16, v2
                                        ; implicit-def: $vgpr3
                                        ; implicit-def: $vgpr0
	s_and_saveexec_b64 s[6:7], s[0:1]
	s_xor_b64 s[6:7], exec, s[6:7]
	s_cbranch_execz .LBB20_15
; %bb.10:
	s_mul_i32 s17, s30, s16
	v_lshl_add_u32 v0, v12, 1, v12
	s_ashr_i32 s0, s17, 31
	v_ashrrev_i32_e32 v1, 31, v0
	s_lshr_b32 s0, s0, 27
	v_lshrrev_b32_e32 v1, 27, v1
	s_add_i32 s0, s17, s0
	v_add_u32_e32 v0, v0, v1
	s_ashr_i32 s0, s0, 5
	v_ashrrev_i32_e32 v0, 5, v0
	v_mad_u64_u32 v[0:1], s[0:1], s0, 3, v[0:1]
	v_ashrrev_i32_e32 v1, 31, v0
	v_lshl_add_u64 v[0:1], v[0:1], 2, s[10:11]
	global_load_dword v4, v[0:1], off
	v_cmp_ne_u32_e64 s[0:1], 20, v2
                                        ; implicit-def: $vgpr3
	s_and_saveexec_b64 s[20:21], s[0:1]
	s_xor_b64 s[0:1], exec, s[20:21]
	s_cbranch_execz .LBB20_12
; %bb.11:
	v_not_b32_e32 v0, 63
	v_mad_u32_u24 v0, v2, 3, v0
	s_waitcnt vmcnt(0)
	v_lshrrev_b32_e32 v3, v0, v4
                                        ; implicit-def: $vgpr0_vgpr1
                                        ; implicit-def: $vgpr4
.LBB20_12:
	s_andn2_saveexec_b64 s[0:1], s[0:1]
	s_cbranch_execz .LBB20_14
; %bb.13:
	global_load_dword v0, v[0:1], off offset:4
	s_waitcnt vmcnt(0)
	v_alignbit_b32 v0, v0, v4, 28
	v_and_b32_e32 v3, 0xfff, v0
.LBB20_14:
	s_or_b64 exec, exec, s[0:1]
	v_mov_b32_e32 v0, s17
.LBB20_15:
	s_andn2_saveexec_b64 s[0:1], s[6:7]
	s_cbranch_execz .LBB20_17
; %bb.16:
	s_mul_i32 s17, s30, s16
	v_lshl_add_u32 v0, v12, 1, v12
	s_ashr_i32 s6, s17, 31
	v_ashrrev_i32_e32 v1, 31, v0
	s_lshr_b32 s6, s6, 27
	v_lshrrev_b32_e32 v1, 27, v1
	s_add_i32 s6, s17, s6
	v_add_u32_e32 v0, v0, v1
	s_ashr_i32 s6, s6, 5
	v_ashrrev_i32_e32 v0, 5, v0
	v_mad_u64_u32 v[0:1], s[6:7], s6, 3, v[0:1]
	v_ashrrev_i32_e32 v1, 31, v0
	v_lshl_add_u64 v[0:1], v[0:1], 2, s[10:11]
	global_load_dword v0, v[0:1], off
	v_not_b32_e32 v1, 31
	v_mad_u32_u24 v1, v2, 3, v1
	s_waitcnt vmcnt(0)
	v_lshrrev_b32_e32 v3, v1, v0
	v_mov_b32_e32 v0, s17
.LBB20_17:
	s_or_b64 exec, exec, s[0:1]
.LBB20_18:
	s_andn2_saveexec_b64 s[0:1], s[4:5]
	s_cbranch_execz .LBB20_20
; %bb.19:
	s_mul_i32 s6, s30, s16
	v_lshl_add_u32 v0, v12, 1, v12
	s_ashr_i32 s4, s6, 31
	v_ashrrev_i32_e32 v1, 31, v0
	s_lshr_b32 s4, s4, 27
	v_lshrrev_b32_e32 v1, 27, v1
	s_add_i32 s4, s6, s4
	v_add_u32_e32 v0, v0, v1
	s_ashr_i32 s4, s4, 5
	v_ashrrev_i32_e32 v0, 5, v0
	v_mad_u64_u32 v[0:1], s[4:5], s4, 3, v[0:1]
	v_ashrrev_i32_e32 v1, 31, v0
	v_lshl_add_u64 v[0:1], v[0:1], 2, s[10:11]
	global_load_dwordx2 v[0:1], v[0:1], off
	s_mov_b32 s4, 0x2010007
	s_waitcnt vmcnt(0)
	v_perm_b32 v0, v0, v1, s4
	v_and_b32_e32 v3, 0xfff, v0
	v_mov_b32_e32 v0, s6
.LBB20_20:
	s_or_b64 exec, exec, s[0:1]
.LBB20_21:
	s_or_saveexec_b64 s[0:1], s[2:3]
	v_lshl_add_u32 v1, v12, 1, v12
	s_waitcnt vmcnt(0)
	v_ashrrev_i32_e32 v4, 31, v1
	v_mul_u32_u24_e32 v15, 3, v2
	s_xor_b64 exec, exec, s[0:1]
	s_cbranch_execz .LBB20_23
; %bb.22:
	s_mul_i32 s4, s30, s16
	s_ashr_i32 s2, s4, 31
	s_lshr_b32 s2, s2, 27
	v_lshrrev_b32_e32 v0, 27, v4
	s_add_i32 s2, s4, s2
	v_add_u32_e32 v0, v1, v0
	s_ashr_i32 s2, s2, 5
	v_ashrrev_i32_e32 v0, 5, v0
	v_mad_u64_u32 v[6:7], s[2:3], s2, 3, v[0:1]
	v_ashrrev_i32_e32 v7, 31, v6
	v_lshl_add_u64 v[6:7], v[6:7], 2, s[10:11]
	global_load_dword v0, v[6:7], off
	s_waitcnt vmcnt(0)
	v_lshrrev_b32_e32 v3, v15, v0
	v_mov_b32_e32 v0, s4
.LBB20_23:
	s_or_b64 exec, exec, s[0:1]
	s_mov_b32 s31, 0
	v_mov_b32_e32 v22, 0
	s_cmp_ge_i32 s27, s28
	v_mov_b32_e32 v21, 0
	v_mov_b32_e32 v20, 0
	;; [unrolled: 1-line block ×3, first 2 shown]
	s_cbranch_scc1 .LBB20_44
; %bb.24:
	v_add_u32_e32 v6, v0, v12
	v_ashrrev_i32_e32 v7, 31, v6
	v_lshl_add_u64 v[6:7], v[6:7], 1, s[12:13]
	global_load_dwordx2 v[18:19], v[6:7], off
	s_lshr_b32 s0, s27, 5
	s_mul_i32 s0, s0, s16
	s_mul_i32 s6, s0, 3
	s_add_i32 s33, s29, s27
	s_ashr_i32 s7, s6, 31
	s_bitcmp1_b32 s19, 0
	s_cselect_b64 s[0:1], -1, 0
	v_lshrrev_b32_e32 v0, 27, v4
	s_xor_b64 s[0:1], s[0:1], -1
	v_add_u32_e32 v0, v1, v0
	s_ashr_i32 s17, s16, 31
	s_lshl_b64 s[6:7], s[6:7], 2
	v_ashrrev_i32_e32 v14, 5, v0
	v_not_b32_e32 v0, 63
	s_add_u32 s6, s8, s6
	v_ashrrev_i32_e32 v13, 31, v12
	v_mad_u32_u24 v24, v2, 3, v0
	v_not_b32_e32 v0, 31
	s_addc_u32 s7, s9, s7
	v_cndmask_b32_e64 v23, 0, 1, s[0:1]
	v_bfe_u32 v27, v3, 9, 3
	v_bfe_u32 v28, v3, 6, 3
	;; [unrolled: 1-line block ×3, first 2 shown]
	v_and_b32_e32 v30, 7, v3
	v_cmp_ne_u32_e64 s[0:1], 8, v2
	v_cmp_lt_u32_e64 s[2:3], 16, v2
	v_cmp_ne_u32_e64 s[4:5], 20, v2
	v_mad_u32_u24 v25, v2, 3, v0
	v_lshl_add_u64 v[16:17], v[12:13], 2, s[6:7]
	s_mul_hi_i32 s7, s16, 12
	s_mul_i32 s6, s16, 12
	s_lshl_b64 s[8:9], s[16:17], 2
	v_mov_b32_e32 v13, 0
	s_mov_b32 s17, 0x2010007
	s_mov_b32 s34, 0x10001
	s_mov_b32 s35, 0x64006400
	s_movk_i32 s36, 0x3000
	s_movk_i32 s37, 0x2400
	s_mov_b32 s38, 0x7060302
	v_mov_b32_e32 v26, 0xe400e400
	v_mov_b32_e32 v20, 0
	;; [unrolled: 1-line block ×4, first 2 shown]
	s_branch .LBB20_27
.LBB20_25:                              ;   in Loop: Header=BB20_27 Depth=1
	s_or_b64 exec, exec, s[18:19]
	v_add_u32_e32 v0, s39, v12
	v_ashrrev_i32_e32 v1, 31, v0
	v_lshl_add_u64 v[0:1], v[0:1], 1, s[12:13]
	global_load_dwordx2 v[18:19], v[0:1], off
	s_add_i32 s33, s33, s29
	v_and_b32_e32 v30, 7, v2
	v_bfe_u32 v29, v2, 3, 3
	v_bfe_u32 v28, v2, 6, 3
	;; [unrolled: 1-line block ×3, first 2 shown]
.LBB20_26:                              ;   in Loop: Header=BB20_27 Depth=1
	v_lshl_add_u64 v[0:1], v[16:17], 0, s[8:9]
	global_load_dwordx4 v[8:11], v[16:17], off
	global_load_dwordx4 v[4:7], v[0:1], off
	v_lshl_add_u64 v[0:1], v[0:1], 0, s[8:9]
	global_load_dwordx4 v[0:3], v[0:1], off
	v_add_u32_e32 v35, v28, v23
	v_add_u32_e32 v32, v29, v23
	;; [unrolled: 1-line block ×3, first 2 shown]
	v_cvt_f32_u32_e32 v39, v35
	v_cvt_f32_u32_e32 v38, v32
	v_mad_u32_u24 v33, v32, s34, v26
	v_mad_u32_u24 v32, v35, s34, v26
	v_cvt_f32_u32_e32 v35, v36
	v_add_u32_e32 v31, v30, v23
	v_cvt_f32_u32_e32 v37, v31
	v_cvt_f16_f32_e32 v67, v39
	v_cvt_f16_f32_e32 v66, v35
	v_cvt_f16_f32_e32 v68, v38
	v_cvt_f16_f32_e32 v69, v37
	v_sub_f16_e32 v37, 0xd800, v67
	v_sub_f16_e32 v38, 0xd800, v66
	v_mul_u32_u24_e32 v43, 0x10001, v37
	v_mul_u32_u24_e32 v42, 0x10001, v38
	v_mad_u32_u24 v34, v31, s34, v26
	v_mad_u32_u24 v31, v36, s34, v26
	v_sub_f16_e32 v35, 0xd800, v69
	v_sub_f16_e32 v36, 0xd800, v68
	v_mul_u32_u24_e32 v47, 0x10001, v35
	v_mul_u32_u24_e32 v45, 0x10001, v36
	v_sub_f16_e32 v66, 0xcc00, v66
	v_sub_f16_e32 v69, 0xcc00, v69
	v_mul_u32_u24_e32 v95, 0x10001, v69
	v_sub_f16_e32 v67, 0xcc00, v67
	v_sub_f16_e32 v68, 0xcc00, v68
	v_mul_u32_u24_e32 v94, 0x10001, v68
	s_add_i32 s27, s27, 32
	v_lshl_add_u64 v[16:17], v[16:17], 0, s[6:7]
	s_waitcnt vmcnt(2)
	v_and_b32_e32 v62, 0x70007, v10
	v_and_b32_e32 v63, 0x380038, v10
	;; [unrolled: 1-line block ×4, first 2 shown]
	v_lshrrev_b32_e32 v75, 6, v8
	v_lshrrev_b32_e32 v37, 15, v8
	v_and_b32_e32 v48, 0x70007, v9
	v_and_b32_e32 v49, 0x380038, v9
	;; [unrolled: 1-line block ×4, first 2 shown]
	v_lshrrev_b32_e32 v82, 6, v11
	v_lshrrev_b32_e32 v8, 15, v11
	s_waitcnt vmcnt(0)
	v_and_b32_e32 v54, 0x70007, v0
	v_and_b32_e32 v55, 0x380038, v0
	v_lshrrev_b32_e32 v52, 6, v0
	v_lshrrev_b32_e32 v53, 13, v0
	v_and_b32_e32 v56, 0x70007, v1
	v_and_b32_e32 v57, 0x380038, v1
	v_lshrrev_b32_e32 v50, 6, v1
	v_lshrrev_b32_e32 v51, 13, v1
	v_or_b32_e32 v0, 0x64006400, v62
	v_or_b32_e32 v1, 0x64006400, v63
	v_mov_b32_e32 v11, s31
	v_and_b32_e32 v84, 0x70007, v4
	v_and_b32_e32 v77, 0x380038, v4
	v_lshrrev_b32_e32 v81, 6, v4
	v_lshrrev_b32_e32 v41, 14, v4
	v_and_b32_e32 v88, 0x70007, v5
	v_and_b32_e32 v76, 0x380038, v5
	v_lshrrev_b32_e32 v80, 6, v5
	v_lshrrev_b32_e32 v40, 14, v5
	;; [unrolled: 4-line block ×4, first 2 shown]
	v_or_b32_e32 v4, 0x64006400, v44
	v_or_b32_e32 v5, 0x64006400, v46
	;; [unrolled: 1-line block ×4, first 2 shown]
	v_and_b32_e32 v58, 0x70007, v2
	v_and_b32_e32 v59, 0x380038, v2
	v_lshrrev_b32_e32 v48, 6, v2
	v_lshrrev_b32_e32 v49, 13, v2
	v_and_b32_e32 v60, 0x70007, v3
	v_and_b32_e32 v61, 0x380038, v3
	v_lshrrev_b32_e32 v44, 6, v3
	v_lshrrev_b32_e32 v46, 13, v3
	v_pk_add_f16 v2, v32, v0
	v_pk_fma_f16 v3, v1, s36, v43 op_sel_hi:[1,0,1]
	ds_read2_b32 v[0:1], v11 offset1:1
	v_lshrrev_b32_e32 v74, 6, v9
	v_lshrrev_b32_e32 v36, 15, v9
	v_pk_add_f16 v9, v34, v4
	v_lshrrev_b32_e32 v83, 6, v10
	v_lshrrev_b32_e32 v35, 15, v10
	v_pk_fma_f16 v10, v5, s36, v47 op_sel_hi:[1,0,1]
	v_pk_add_f16 v6, v33, v6
	v_or_b32_e32 v4, 0x64006400, v64
	s_waitcnt lgkmcnt(0)
	v_pk_fma_f16 v62, v9, v0, 0
	v_pk_fma_f16 v7, v7, s36, v45 op_sel_hi:[1,0,1]
	v_or_b32_e32 v5, 0x64006400, v65
	v_pk_add_f16 v4, v31, v4
	v_pk_fma_f16 v85, v10, v1, v62
	v_pk_fma_f16 v62, v6, v0, 0
	v_pk_fma_f16 v5, v5, s36, v42 op_sel_hi:[1,0,1]
	v_pk_fma_f16 v89, v7, v1, v62
	v_pk_fma_f16 v62, v2, v0, 0
	;; [unrolled: 1-line block ×5, first 2 shown]
	v_and_b32_e32 v0, 0x70007, v75
	v_or_b32_e32 v0, 0x64006400, v0
	v_and_b32_e32 v1, 0x380038, v75
	v_pk_add_f16 v70, v34, v0
	v_and_b32_e32 v0, 0x70007, v74
	ds_read2_b32 v[90:91], v11 offset0:2 offset1:3
	ds_read2_b32 v[96:97], v11 offset0:4 offset1:5
	;; [unrolled: 1-line block ×3, first 2 shown]
	v_or_b32_e32 v1, 0x64006400, v1
	v_or_b32_e32 v0, 0x64006400, v0
	v_pk_fma_f16 v71, v1, s36, v47 op_sel_hi:[1,0,1]
	v_and_b32_e32 v1, 0x380038, v74
	v_pk_add_f16 v64, v33, v0
	v_and_b32_e32 v0, 0x70007, v83
	v_or_b32_e32 v1, 0x64006400, v1
	v_or_b32_e32 v0, 0x64006400, v0
	v_pk_fma_f16 v65, v1, s36, v45 op_sel_hi:[1,0,1]
	v_and_b32_e32 v1, 0x380038, v83
	v_pk_add_f16 v62, v32, v0
	v_and_b32_e32 v0, 0x70007, v82
	s_waitcnt lgkmcnt(2)
	v_pk_fma_f16 v85, v70, v90, v85
	v_or_b32_e32 v1, 0x64006400, v1
	v_or_b32_e32 v0, 0x64006400, v0
	v_pk_fma_f16 v100, v71, v91, v85
	v_pk_fma_f16 v85, v64, v90, v89
	v_pk_fma_f16 v63, v1, s36, v43 op_sel_hi:[1,0,1]
	v_pk_add_f16 v0, v31, v0
	v_pk_fma_f16 v89, v65, v91, v85
	v_pk_fma_f16 v85, v62, v90, v92
	v_and_b32_e32 v1, 0x380038, v82
	v_pk_fma_f16 v92, v63, v91, v85
	v_pk_fma_f16 v85, v0, v90, v93
	v_mul_u32_u24_e32 v90, 0x10001, v66
	v_and_b32_e32 v66, 0x1c001c0, v75
	v_or_b32_e32 v66, 0x64006400, v66
	v_mul_u32_u24_e32 v93, 0x10001, v67
	v_or_b32_e32 v67, 0x64006400, v84
	v_pk_fma_f16 v84, v66, s37, v95 op_sel_hi:[1,0,1]
	v_and_b32_e32 v66, 0x1c001c0, v74
	v_or_b32_e32 v1, 0x64006400, v1
	v_or_b32_e32 v66, 0x64006400, v66
	v_pk_fma_f16 v1, v1, s36, v42 op_sel_hi:[1,0,1]
	v_pk_fma_f16 v74, v66, s37, v94 op_sel_hi:[1,0,1]
	v_and_b32_e32 v66, 0x1c001c0, v83
	v_pk_fma_f16 v91, v1, v91, v85
	v_pk_add_f16 v85, v34, v67
	v_or_b32_e32 v67, 0x64006400, v88
	v_or_b32_e32 v66, 0x64006400, v66
	v_pk_add_f16 v75, v33, v67
	v_or_b32_e32 v67, 0x64006400, v87
	v_pk_fma_f16 v68, v66, s37, v93 op_sel_hi:[1,0,1]
	v_and_b32_e32 v66, 0x1c001c0, v82
	s_waitcnt lgkmcnt(1)
	v_pk_fma_f16 v82, v84, v96, v100
	v_pk_add_f16 v69, v32, v67
	v_or_b32_e32 v66, 0x64006400, v66
	v_or_b32_e32 v67, 0x64006400, v86
	v_pk_fma_f16 v86, v85, v97, v82
	v_pk_fma_f16 v82, v74, v96, v89
	v_pk_fma_f16 v66, v66, s37, v90 op_sel_hi:[1,0,1]
	v_pk_fma_f16 v87, v75, v97, v82
	v_pk_fma_f16 v82, v68, v96, v92
	v_pk_add_f16 v67, v31, v67
	v_pk_fma_f16 v92, v69, v97, v82
	v_pk_fma_f16 v82, v66, v96, v91
	v_or_b32_e32 v77, 0x64006400, v77
	v_pk_fma_f16 v91, v67, v97, v82
	v_and_b32_e32 v82, 0x70007, v81
	v_or_b32_e32 v82, 0x64006400, v82
	v_pk_fma_f16 v89, v77, s36, v47 op_sel_hi:[1,0,1]
	v_or_b32_e32 v76, 0x64006400, v76
	v_and_b32_e32 v77, 0x70007, v80
	v_pk_add_f16 v88, v34, v82
	v_or_b32_e32 v77, 0x64006400, v77
	v_pk_fma_f16 v82, v76, s36, v45 op_sel_hi:[1,0,1]
	v_or_b32_e32 v73, 0x64006400, v73
	v_and_b32_e32 v76, 0x70007, v79
	s_waitcnt lgkmcnt(0)
	v_pk_fma_f16 v86, v89, v98, v86
	v_pk_add_f16 v83, v33, v77
	v_or_b32_e32 v77, 0x64006400, v76
	v_pk_fma_f16 v76, v73, s36, v43 op_sel_hi:[1,0,1]
	v_or_b32_e32 v72, 0x64006400, v72
	v_and_b32_e32 v73, 0x70007, v78
	v_pk_fma_f16 v104, v88, v99, v86
	v_pk_fma_f16 v86, v82, v98, v87
	v_pk_add_f16 v77, v32, v77
	v_or_b32_e32 v73, 0x64006400, v73
	v_pk_fma_f16 v72, v72, s36, v42 op_sel_hi:[1,0,1]
	v_pk_fma_f16 v105, v83, v99, v86
	v_pk_fma_f16 v86, v76, v98, v92
	v_pk_add_f16 v73, v31, v73
	v_pk_fma_f16 v106, v77, v99, v86
	v_pk_fma_f16 v86, v72, v98, v91
	ds_read2_b32 v[96:97], v11 offset0:8 offset1:9
	v_pk_fma_f16 v107, v73, v99, v86
	v_and_b32_e32 v86, 0x380038, v81
	v_and_b32_e32 v81, 0x1c001c0, v81
	v_or_b32_e32 v81, 0x64006400, v81
	v_pk_fma_f16 v92, v81, s37, v95 op_sel_hi:[1,0,1]
	v_and_b32_e32 v81, 0x380038, v80
	v_and_b32_e32 v80, 0x1c001c0, v80
	v_or_b32_e32 v80, 0x64006400, v80
	v_pk_fma_f16 v87, v80, s37, v94 op_sel_hi:[1,0,1]
	v_and_b32_e32 v80, 0x380038, v79
	v_and_b32_e32 v79, 0x1c001c0, v79
	v_or_b32_e32 v86, 0x64006400, v86
	v_or_b32_e32 v81, 0x64006400, v81
	;; [unrolled: 1-line block ×3, first 2 shown]
	v_pk_fma_f16 v91, v86, s36, v47 op_sel_hi:[1,0,1]
	v_pk_fma_f16 v86, v81, s36, v45 op_sel_hi:[1,0,1]
	;; [unrolled: 1-line block ×3, first 2 shown]
	v_and_b32_e32 v79, 0x380038, v78
	v_and_b32_e32 v78, 0x1c001c0, v78
	v_or_b32_e32 v80, 0x64006400, v80
	v_or_b32_e32 v79, 0x64006400, v79
	;; [unrolled: 1-line block ×3, first 2 shown]
	v_pk_fma_f16 v80, v80, s36, v43 op_sel_hi:[1,0,1]
	v_pk_fma_f16 v78, v79, s36, v42 op_sel_hi:[1,0,1]
	;; [unrolled: 1-line block ×3, first 2 shown]
	ds_read2_b32 v[98:99], v11 offset0:10 offset1:11
	ds_read2_b32 v[100:101], v11 offset0:12 offset1:13
	;; [unrolled: 1-line block ×3, first 2 shown]
	s_waitcnt lgkmcnt(3)
	v_pk_fma_f16 v104, v91, v96, v104
	v_pk_fma_f16 v105, v86, v96, v105
	;; [unrolled: 1-line block ×4, first 2 shown]
	v_or_b32_e32 v54, 0x64006400, v54
	v_or_b32_e32 v56, 0x64006400, v56
	;; [unrolled: 1-line block ×4, first 2 shown]
	v_pk_fma_f16 v104, v92, v97, v104
	v_pk_fma_f16 v105, v87, v97, v105
	;; [unrolled: 1-line block ×4, first 2 shown]
	v_pk_add_f16 v54, v34, v54
	v_pk_add_f16 v56, v33, v56
	;; [unrolled: 1-line block ×4, first 2 shown]
	s_waitcnt lgkmcnt(2)
	v_pk_fma_f16 v97, v54, v98, v104
	v_pk_fma_f16 v104, v56, v98, v105
	;; [unrolled: 1-line block ×4, first 2 shown]
	v_and_b32_e32 v98, 0x380038, v52
	v_or_b32_e32 v55, 0x64006400, v55
	v_or_b32_e32 v98, 0x64006400, v98
	v_pk_fma_f16 v55, v55, s36, v47 op_sel_hi:[1,0,1]
	v_pk_fma_f16 v47, v98, s36, v47 op_sel_hi:[1,0,1]
	v_and_b32_e32 v98, 0x380038, v50
	v_or_b32_e32 v57, 0x64006400, v57
	v_or_b32_e32 v98, 0x64006400, v98
	v_pk_fma_f16 v57, v57, s36, v45 op_sel_hi:[1,0,1]
	v_pk_fma_f16 v45, v98, s36, v45 op_sel_hi:[1,0,1]
	v_and_b32_e32 v98, 0x380038, v48
	v_or_b32_e32 v59, 0x64006400, v59
	v_or_b32_e32 v98, 0x64006400, v98
	v_pk_fma_f16 v59, v59, s36, v43 op_sel_hi:[1,0,1]
	v_or_b32_e32 v61, 0x64006400, v61
	v_pk_fma_f16 v98, v98, s36, v43 op_sel_hi:[1,0,1]
	v_and_b32_e32 v43, 0x380038, v44
	v_pk_fma_f16 v61, v61, s36, v42 op_sel_hi:[1,0,1]
	v_or_b32_e32 v43, 0x64006400, v43
	v_and_b32_e32 v41, 0x20002, v41
	v_pk_fma_f16 v97, v55, v99, v97
	v_pk_fma_f16 v104, v57, v99, v104
	;; [unrolled: 1-line block ×4, first 2 shown]
	v_pk_fma_f16 v99, v43, s36, v42 op_sel_hi:[1,0,1]
	v_and_b32_e32 v42, 0x70007, v52
	v_and_or_b32 v37, v37, s34, v41
	v_and_b32_e32 v41, 0x40004, v53
	v_or_b32_e32 v42, 0x64006400, v42
	v_or3_b32 v37, v37, v41, s35
	v_pk_add_f16 v106, v34, v42
	v_pk_add_f16 v53, v34, v37
	v_and_b32_e32 v34, 0x20002, v40
	v_and_b32_e32 v42, 0x70007, v50
	v_and_or_b32 v34, v36, s34, v34
	v_and_b32_e32 v36, 0x40004, v51
	v_or_b32_e32 v42, 0x64006400, v42
	v_or3_b32 v34, v34, v36, s35
	v_pk_add_f16 v107, v33, v42
	v_pk_add_f16 v51, v33, v34
	v_and_b32_e32 v33, 0x20002, v39
	;; [unrolled: 8-line block ×3, first 2 shown]
	v_and_b32_e32 v42, 0x70007, v44
	v_and_or_b32 v8, v8, s34, v32
	v_and_b32_e32 v32, 0x40004, v46
	v_or_b32_e32 v42, 0x64006400, v42
	v_and_b32_e32 v41, 0x1c001c0, v52
	v_or3_b32 v8, v8, v32, s35
	v_and_b32_e32 v32, 0x1c001c0, v44
	v_pk_add_f16 v109, v31, v42
	s_waitcnt lgkmcnt(1)
	v_pk_fma_f16 v42, v106, v100, v97
	v_or_b32_e32 v41, 0x64006400, v41
	v_and_b32_e32 v36, 0x1c001c0, v50
	v_or_b32_e32 v32, 0x64006400, v32
	v_pk_fma_f16 v42, v47, v101, v42
	v_pk_fma_f16 v43, v107, v100, v104
	v_pk_fma_f16 v52, v41, s37, v95 op_sel_hi:[1,0,1]
	v_or_b32_e32 v36, 0x64006400, v36
	v_and_b32_e32 v34, 0x1c001c0, v48
	v_pk_fma_f16 v44, v32, s37, v90 op_sel_hi:[1,0,1]
	ds_read2_b32 v[32:33], v11 offset0:64 offset1:65
	v_pk_fma_f16 v43, v45, v101, v43
	v_pk_fma_f16 v97, v108, v100, v105
	v_pk_fma_f16 v50, v36, s37, v94 op_sel_hi:[1,0,1]
	v_or_b32_e32 v34, 0x64006400, v34
	v_pk_add_f16 v31, v31, v8
	s_waitcnt lgkmcnt(1)
	v_pk_fma_f16 v8, v52, v102, v42
	v_pk_fma_f16 v97, v98, v101, v97
	;; [unrolled: 1-line block ×3, first 2 shown]
	v_pk_fma_f16 v48, v34, s37, v93 op_sel_hi:[1,0,1]
	v_pk_fma_f16 v46, v53, v103, v8
	v_pk_fma_f16 v8, v50, v102, v43
	;; [unrolled: 1-line block ×5, first 2 shown]
	ds_read2_b32 v[34:35], v11 offset0:66 offset1:67
	ds_read2_b32 v[36:37], v11 offset0:68 offset1:69
	;; [unrolled: 1-line block ×3, first 2 shown]
	v_pk_fma_f16 v93, v49, v103, v8
	v_pk_fma_f16 v8, v44, v102, v96
	s_waitcnt lgkmcnt(3)
	v_pk_fma_f16 v2, v2, v32, 0
	v_pk_fma_f16 v94, v31, v103, v8
	;; [unrolled: 1-line block ×6, first 2 shown]
	s_waitcnt lgkmcnt(2)
	v_pk_fma_f16 v8, v70, v34, v8
	v_pk_fma_f16 v3, v4, v32, 0
	;; [unrolled: 1-line block ×4, first 2 shown]
	s_waitcnt lgkmcnt(1)
	v_pk_fma_f16 v8, v84, v36, v8
	v_pk_fma_f16 v3, v5, v33, v3
	;; [unrolled: 1-line block ×6, first 2 shown]
	s_waitcnt lgkmcnt(0)
	v_pk_fma_f16 v10, v89, v38, v8
	ds_read2_b32 v[8:9], v11 offset0:72 offset1:73
	v_pk_fma_f16 v6, v65, v35, v6
	v_pk_fma_f16 v2, v63, v35, v2
	;; [unrolled: 1-line block ×13, first 2 shown]
	ds_read2_b32 v[40:41], v11 offset0:74 offset1:75
	ds_read2_b32 v[42:43], v11 offset0:76 offset1:77
	;; [unrolled: 1-line block ×3, first 2 shown]
	v_pk_fma_f16 v6, v83, v39, v6
	v_pk_fma_f16 v2, v77, v39, v2
	v_pk_fma_f16 v0, v73, v39, v0
	s_waitcnt lgkmcnt(3)
	v_pk_fma_f16 v70, v91, v8, v70
	v_pk_fma_f16 v6, v86, v8, v6
	v_pk_fma_f16 v2, v80, v8, v2
	v_pk_fma_f16 v0, v78, v8, v0
	v_pk_fma_f16 v70, v92, v9, v70
	v_pk_fma_f16 v6, v87, v9, v6
	v_pk_fma_f16 v2, v81, v9, v2
	v_pk_fma_f16 v0, v79, v9, v0
	s_waitcnt lgkmcnt(2)
	v_pk_fma_f16 v54, v54, v40, v70
	v_pk_fma_f16 v6, v56, v40, v6
	v_pk_fma_f16 v2, v58, v40, v2
	v_pk_fma_f16 v0, v60, v40, v0
	v_pk_fma_f16 v54, v55, v41, v54
	;; [unrolled: 9-line block ×3, first 2 shown]
	v_pk_fma_f16 v6, v45, v43, v6
	v_pk_fma_f16 v2, v98, v43, v2
	;; [unrolled: 1-line block ×3, first 2 shown]
	s_waitcnt lgkmcnt(0)
	v_pk_fma_f16 v47, v52, v10, v47
	v_pk_fma_f16 v6, v50, v10, v6
	v_pack_b32_f16 v7, v46, v90
	v_perm_b32 v45, v90, v46, s38
	v_pk_fma_f16 v2, v48, v10, v2
	v_pk_fma_f16 v0, v44, v10, v0
	v_pack_b32_f16 v1, v93, v94
	v_perm_b32 v3, v94, v93, s38
	v_pk_fma_f16 v47, v53, v11, v47
	v_pk_fma_f16 v6, v51, v11, v6
	v_pk_add_f16 v7, v7, v45
	v_pk_fma_f16 v2, v49, v11, v2
	v_pk_fma_f16 v0, v31, v11, v0
	v_pk_add_f16 v1, v1, v3
	v_pk_fma_f16 v22, v7, v18, v22
	v_pack_b32_f16 v7, v47, v6
	v_perm_b32 v6, v6, v47, s38
	v_pk_fma_f16 v21, v1, v19, v21
	v_pack_b32_f16 v1, v2, v0
	v_perm_b32 v0, v0, v2, s38
	v_pk_add_f16 v6, v7, v6
	v_pk_add_f16 v0, v1, v0
	s_add_i32 s31, s31, 64
	v_pk_fma_f16 v20, v6, v18, v20
	v_pk_fma_f16 v13, v0, v19, v13
	s_cmp_ge_i32 s27, s28
	s_cbranch_scc1 .LBB20_44
.LBB20_27:                              ; =>This Inner Loop Header: Depth=1
	s_cmp_lg_u32 s27, s33
	s_cbranch_scc1 .LBB20_26
; %bb.28:                               ;   in Loop: Header=BB20_27 Depth=1
	s_add_i32 s30, s30, 1
	s_mul_i32 s39, s30, s16
	s_ashr_i32 s18, s39, 31
	s_lshr_b32 s18, s18, 27
	s_add_i32 s18, s39, s18
	s_ashr_i32 s18, s18, 5
	v_mad_u64_u32 v[0:1], s[18:19], s18, 3, v[14:15]
	v_ashrrev_i32_e32 v1, 31, v0
	v_lshl_add_u64 v[0:1], v[0:1], 2, s[10:11]
	global_load_dword v3, v[0:1], off
                                        ; implicit-def: $vgpr2
	s_and_saveexec_b64 s[18:19], vcc
	s_xor_b64 s[18:19], exec, s[18:19]
	s_cbranch_execz .LBB20_42
; %bb.29:                               ;   in Loop: Header=BB20_27 Depth=1
                                        ; implicit-def: $vgpr2
	s_and_saveexec_b64 s[20:21], s[0:1]
	s_xor_b64 s[20:21], exec, s[20:21]
	s_cbranch_execz .LBB20_39
; %bb.30:                               ;   in Loop: Header=BB20_27 Depth=1
                                        ; implicit-def: $vgpr2
	s_and_saveexec_b64 s[22:23], s[2:3]
	;; [unrolled: 5-line block ×3, first 2 shown]
	s_xor_b64 s[24:25], exec, s[24:25]
	s_cbranch_execz .LBB20_33
; %bb.32:                               ;   in Loop: Header=BB20_27 Depth=1
	s_waitcnt vmcnt(0)
	v_lshrrev_b32_e32 v2, v24, v3
                                        ; implicit-def: $vgpr0_vgpr1
                                        ; implicit-def: $vgpr3
.LBB20_33:                              ;   in Loop: Header=BB20_27 Depth=1
	s_andn2_saveexec_b64 s[24:25], s[24:25]
	s_cbranch_execz .LBB20_35
; %bb.34:                               ;   in Loop: Header=BB20_27 Depth=1
	global_load_dword v0, v[0:1], off offset:4
	s_waitcnt vmcnt(0)
	v_alignbit_b32 v0, v0, v3, 28
	v_and_b32_e32 v2, 0xfff, v0
.LBB20_35:                              ;   in Loop: Header=BB20_27 Depth=1
	s_or_b64 exec, exec, s[24:25]
                                        ; implicit-def: $vgpr3
.LBB20_36:                              ;   in Loop: Header=BB20_27 Depth=1
	s_andn2_saveexec_b64 s[22:23], s[22:23]
	s_cbranch_execz .LBB20_38
; %bb.37:                               ;   in Loop: Header=BB20_27 Depth=1
	s_waitcnt vmcnt(0)
	v_lshrrev_b32_e32 v2, v25, v3
.LBB20_38:                              ;   in Loop: Header=BB20_27 Depth=1
	s_or_b64 exec, exec, s[22:23]
                                        ; implicit-def: $vgpr0_vgpr1
                                        ; implicit-def: $vgpr3
.LBB20_39:                              ;   in Loop: Header=BB20_27 Depth=1
	s_andn2_saveexec_b64 s[20:21], s[20:21]
	s_cbranch_execz .LBB20_41
; %bb.40:                               ;   in Loop: Header=BB20_27 Depth=1
	global_load_dword v0, v[0:1], off offset:4
	s_waitcnt vmcnt(0)
	v_perm_b32 v0, v3, v0, s17
	v_and_b32_e32 v2, 0xfff, v0
.LBB20_41:                              ;   in Loop: Header=BB20_27 Depth=1
	s_or_b64 exec, exec, s[20:21]
                                        ; implicit-def: $vgpr3
.LBB20_42:                              ;   in Loop: Header=BB20_27 Depth=1
	s_andn2_saveexec_b64 s[18:19], s[18:19]
	s_cbranch_execz .LBB20_25
; %bb.43:                               ;   in Loop: Header=BB20_27 Depth=1
	s_waitcnt vmcnt(0)
	v_lshrrev_b32_e32 v2, v15, v3
	s_branch .LBB20_25
.LBB20_44:
	s_mul_i32 s26, s26, s16
	v_add_u32_e32 v0, s26, v12
	v_ashrrev_i32_e32 v1, 31, v0
	v_lshl_add_u64 v[2:3], v[0:1], 1, s[14:15]
	global_load_dword v5, v[2:3], off
	s_mov_b64 s[0:1], 0
.LBB20_45:                              ; =>This Inner Loop Header: Depth=1
	s_waitcnt vmcnt(0)
	v_pk_add_f16 v4, v22, v5
	global_atomic_cmpswap v1, v[2:3], v[4:5], off sc0
	s_waitcnt vmcnt(0)
	v_cmp_eq_u32_e32 vcc, v5, v1
	s_or_b64 s[0:1], vcc, s[0:1]
	v_mov_b32_e32 v5, v1
	s_andn2_b64 exec, exec, s[0:1]
	s_cbranch_execnz .LBB20_45
; %bb.46:
	s_or_b64 exec, exec, s[0:1]
	global_load_dword v5, v[2:3], off offset:4
	s_mov_b64 s[0:1], 0
.LBB20_47:                              ; =>This Inner Loop Header: Depth=1
	s_waitcnt vmcnt(0)
	v_pk_add_f16 v4, v21, v5
	global_atomic_cmpswap v1, v[2:3], v[4:5], off offset:4 sc0
	s_waitcnt vmcnt(0)
	v_cmp_eq_u32_e32 vcc, v5, v1
	s_or_b64 s[0:1], vcc, s[0:1]
	v_mov_b32_e32 v5, v1
	s_andn2_b64 exec, exec, s[0:1]
	s_cbranch_execnz .LBB20_47
; %bb.48:
	s_or_b64 exec, exec, s[0:1]
	v_add_u32_e32 v0, s16, v0
	v_ashrrev_i32_e32 v1, 31, v0
	v_lshl_add_u64 v[0:1], v[0:1], 1, s[14:15]
	global_load_dword v3, v[0:1], off
	s_mov_b64 s[0:1], 0
.LBB20_49:                              ; =>This Inner Loop Header: Depth=1
	s_waitcnt vmcnt(0)
	v_pk_add_f16 v2, v20, v3
	global_atomic_cmpswap v2, v[0:1], v[2:3], off sc0
	s_waitcnt vmcnt(0)
	v_cmp_eq_u32_e32 vcc, v3, v2
	s_or_b64 s[0:1], vcc, s[0:1]
	v_mov_b32_e32 v3, v2
	s_andn2_b64 exec, exec, s[0:1]
	s_cbranch_execnz .LBB20_49
; %bb.50:
	s_or_b64 exec, exec, s[0:1]
	global_load_dword v3, v[0:1], off offset:4
	s_mov_b64 s[0:1], 0
.LBB20_51:                              ; =>This Inner Loop Header: Depth=1
	s_waitcnt vmcnt(0)
	v_pk_add_f16 v2, v13, v3
	global_atomic_cmpswap v2, v[0:1], v[2:3], off offset:4 sc0
	s_waitcnt vmcnt(0)
	v_cmp_eq_u32_e32 vcc, v3, v2
	s_or_b64 s[0:1], vcc, s[0:1]
	v_mov_b32_e32 v3, v2
	s_andn2_b64 exec, exec, s[0:1]
	s_cbranch_execnz .LBB20_51
.LBB20_52:
	s_endpgm
	.section	.rodata,"a",@progbits
	.p2align	6, 0x0
	.amdhsa_kernel _ZN4vllm4gptq33gemm_half_q_half_gptq_3bit_kernelILb1ELi2EEEvPK6__halfPKjS6_S4_PS2_iiiibPKi
		.amdhsa_group_segment_fixed_size 512
		.amdhsa_private_segment_fixed_size 0
		.amdhsa_kernarg_size 72
		.amdhsa_user_sgpr_count 2
		.amdhsa_user_sgpr_dispatch_ptr 0
		.amdhsa_user_sgpr_queue_ptr 0
		.amdhsa_user_sgpr_kernarg_segment_ptr 1
		.amdhsa_user_sgpr_dispatch_id 0
		.amdhsa_user_sgpr_kernarg_preload_length 0
		.amdhsa_user_sgpr_kernarg_preload_offset 0
		.amdhsa_user_sgpr_private_segment_size 0
		.amdhsa_uses_dynamic_stack 0
		.amdhsa_enable_private_segment 0
		.amdhsa_system_sgpr_workgroup_id_x 1
		.amdhsa_system_sgpr_workgroup_id_y 1
		.amdhsa_system_sgpr_workgroup_id_z 1
		.amdhsa_system_sgpr_workgroup_info 0
		.amdhsa_system_vgpr_workitem_id 0
		.amdhsa_next_free_vgpr 110
		.amdhsa_next_free_sgpr 40
		.amdhsa_accum_offset 112
		.amdhsa_reserve_vcc 1
		.amdhsa_float_round_mode_32 0
		.amdhsa_float_round_mode_16_64 0
		.amdhsa_float_denorm_mode_32 3
		.amdhsa_float_denorm_mode_16_64 3
		.amdhsa_dx10_clamp 1
		.amdhsa_ieee_mode 1
		.amdhsa_fp16_overflow 0
		.amdhsa_tg_split 0
		.amdhsa_exception_fp_ieee_invalid_op 0
		.amdhsa_exception_fp_denorm_src 0
		.amdhsa_exception_fp_ieee_div_zero 0
		.amdhsa_exception_fp_ieee_overflow 0
		.amdhsa_exception_fp_ieee_underflow 0
		.amdhsa_exception_fp_ieee_inexact 0
		.amdhsa_exception_int_div_zero 0
	.end_amdhsa_kernel
	.section	.text._ZN4vllm4gptq33gemm_half_q_half_gptq_3bit_kernelILb1ELi2EEEvPK6__halfPKjS6_S4_PS2_iiiibPKi,"axG",@progbits,_ZN4vllm4gptq33gemm_half_q_half_gptq_3bit_kernelILb1ELi2EEEvPK6__halfPKjS6_S4_PS2_iiiibPKi,comdat
.Lfunc_end20:
	.size	_ZN4vllm4gptq33gemm_half_q_half_gptq_3bit_kernelILb1ELi2EEEvPK6__halfPKjS6_S4_PS2_iiiibPKi, .Lfunc_end20-_ZN4vllm4gptq33gemm_half_q_half_gptq_3bit_kernelILb1ELi2EEEvPK6__halfPKjS6_S4_PS2_iiiibPKi
                                        ; -- End function
	.set _ZN4vllm4gptq33gemm_half_q_half_gptq_3bit_kernelILb1ELi2EEEvPK6__halfPKjS6_S4_PS2_iiiibPKi.num_vgpr, 110
	.set _ZN4vllm4gptq33gemm_half_q_half_gptq_3bit_kernelILb1ELi2EEEvPK6__halfPKjS6_S4_PS2_iiiibPKi.num_agpr, 0
	.set _ZN4vllm4gptq33gemm_half_q_half_gptq_3bit_kernelILb1ELi2EEEvPK6__halfPKjS6_S4_PS2_iiiibPKi.numbered_sgpr, 40
	.set _ZN4vllm4gptq33gemm_half_q_half_gptq_3bit_kernelILb1ELi2EEEvPK6__halfPKjS6_S4_PS2_iiiibPKi.num_named_barrier, 0
	.set _ZN4vllm4gptq33gemm_half_q_half_gptq_3bit_kernelILb1ELi2EEEvPK6__halfPKjS6_S4_PS2_iiiibPKi.private_seg_size, 0
	.set _ZN4vllm4gptq33gemm_half_q_half_gptq_3bit_kernelILb1ELi2EEEvPK6__halfPKjS6_S4_PS2_iiiibPKi.uses_vcc, 1
	.set _ZN4vllm4gptq33gemm_half_q_half_gptq_3bit_kernelILb1ELi2EEEvPK6__halfPKjS6_S4_PS2_iiiibPKi.uses_flat_scratch, 0
	.set _ZN4vllm4gptq33gemm_half_q_half_gptq_3bit_kernelILb1ELi2EEEvPK6__halfPKjS6_S4_PS2_iiiibPKi.has_dyn_sized_stack, 0
	.set _ZN4vllm4gptq33gemm_half_q_half_gptq_3bit_kernelILb1ELi2EEEvPK6__halfPKjS6_S4_PS2_iiiibPKi.has_recursion, 0
	.set _ZN4vllm4gptq33gemm_half_q_half_gptq_3bit_kernelILb1ELi2EEEvPK6__halfPKjS6_S4_PS2_iiiibPKi.has_indirect_call, 0
	.section	.AMDGPU.csdata,"",@progbits
; Kernel info:
; codeLenInByte = 5236
; TotalNumSgprs: 46
; NumVgprs: 110
; NumAgprs: 0
; TotalNumVgprs: 110
; ScratchSize: 0
; MemoryBound: 0
; FloatMode: 240
; IeeeMode: 1
; LDSByteSize: 512 bytes/workgroup (compile time only)
; SGPRBlocks: 5
; VGPRBlocks: 13
; NumSGPRsForWavesPerEU: 46
; NumVGPRsForWavesPerEU: 110
; AccumOffset: 112
; Occupancy: 4
; WaveLimiterHint : 0
; COMPUTE_PGM_RSRC2:SCRATCH_EN: 0
; COMPUTE_PGM_RSRC2:USER_SGPR: 2
; COMPUTE_PGM_RSRC2:TRAP_HANDLER: 0
; COMPUTE_PGM_RSRC2:TGID_X_EN: 1
; COMPUTE_PGM_RSRC2:TGID_Y_EN: 1
; COMPUTE_PGM_RSRC2:TGID_Z_EN: 1
; COMPUTE_PGM_RSRC2:TIDIG_COMP_CNT: 0
; COMPUTE_PGM_RSRC3_GFX90A:ACCUM_OFFSET: 27
; COMPUTE_PGM_RSRC3_GFX90A:TG_SPLIT: 0
	.section	.text._ZN4vllm4gptq33gemm_half_q_half_gptq_4bit_kernelILb1ELi2EEEvPK6__halfPKjS6_S4_PS2_iiiibPKi,"axG",@progbits,_ZN4vllm4gptq33gemm_half_q_half_gptq_4bit_kernelILb1ELi2EEEvPK6__halfPKjS6_S4_PS2_iiiibPKi,comdat
	.protected	_ZN4vllm4gptq33gemm_half_q_half_gptq_4bit_kernelILb1ELi2EEEvPK6__halfPKjS6_S4_PS2_iiiibPKi ; -- Begin function _ZN4vllm4gptq33gemm_half_q_half_gptq_4bit_kernelILb1ELi2EEEvPK6__halfPKjS6_S4_PS2_iiiibPKi
	.globl	_ZN4vllm4gptq33gemm_half_q_half_gptq_4bit_kernelILb1ELi2EEEvPK6__halfPKjS6_S4_PS2_iiiibPKi
	.p2align	8
	.type	_ZN4vllm4gptq33gemm_half_q_half_gptq_4bit_kernelILb1ELi2EEEvPK6__halfPKjS6_S4_PS2_iiiibPKi,@function
_ZN4vllm4gptq33gemm_half_q_half_gptq_4bit_kernelILb1ELi2EEEvPK6__halfPKjS6_S4_PS2_iiiibPKi: ; @_ZN4vllm4gptq33gemm_half_q_half_gptq_4bit_kernelILb1ELi2EEEvPK6__halfPKjS6_S4_PS2_iiiibPKi
; %bb.0:
	s_load_dwordx8 s[8:15], s[0:1], 0x8
	s_load_dwordx4 s[16:19], s[0:1], 0x2c
	s_lshl_b32 s23, s4, 7
	s_lshl_b32 s22, s3, 1
	s_add_i32 s3, s23, 0x80
	v_cvt_f64_u32_e32 v[2:3], s3
	s_waitcnt lgkmcnt(0)
	v_cvt_f64_i32_e32 v[4:5], s17
	v_min_f64 v[2:3], v[2:3], v[4:5]
	v_cvt_i32_f64_e32 v1, v[2:3]
	v_add_u32_e32 v2, s23, v0
	v_readfirstlane_b32 s24, v1
	v_cmp_lt_u32_e32 vcc, v2, v1
	s_and_saveexec_b64 s[4:5], vcc
	s_cbranch_execz .LBB21_6
; %bb.1:
	s_load_dwordx2 s[20:21], s[0:1], 0x40
	s_load_dwordx2 s[6:7], s[0:1], 0x0
	v_mov_b32_e32 v3, 0
	v_mov_b64_e32 v[6:7], v[2:3]
	s_waitcnt lgkmcnt(0)
	s_cmp_lg_u64 s[20:21], 0
	s_cselect_b64 s[0:1], -1, 0
	s_cmp_eq_u64 s[20:21], 0
	v_lshl_add_u64 v[4:5], v[2:3], 2, s[20:21]
	s_cbranch_scc1 .LBB21_3
; %bb.2:
	global_load_dword v6, v[4:5], off
	s_waitcnt vmcnt(0)
	v_ashrrev_i32_e32 v7, 31, v6
.LBB21_3:
	s_mul_i32 s20, s22, s17
	s_ashr_i32 s21, s20, 31
	s_lshl_b64 s[26:27], s[20:21], 1
	s_add_u32 s26, s6, s26
	s_addc_u32 s27, s7, s27
	v_lshl_add_u64 v[6:7], v[6:7], 1, s[26:27]
	global_load_ushort v6, v[6:7], off
	v_lshlrev_b32_e32 v1, 1, v0
	s_andn2_b64 vcc, exec, s[0:1]
	s_waitcnt vmcnt(0)
	ds_write_b16 v1, v6
	s_cbranch_vccnz .LBB21_5
; %bb.4:
	global_load_dword v2, v[4:5], off
	s_waitcnt vmcnt(0)
	v_ashrrev_i32_e32 v3, 31, v2
.LBB21_5:
	s_add_i32 s0, s20, s17
	s_ashr_i32 s1, s0, 31
	s_lshl_b64 s[0:1], s[0:1], 1
	s_add_u32 s0, s6, s0
	s_addc_u32 s1, s7, s1
	v_lshl_add_u64 v[2:3], v[2:3], 1, s[0:1]
	global_load_ushort v2, v[2:3], off
	s_waitcnt vmcnt(0)
	ds_write_b16 v1, v2 offset:256
.LBB21_6:
	s_or_b64 exec, exec, s[4:5]
	v_lshlrev_b32_e32 v1, 2, v0
	v_lshl_add_u32 v2, s2, 9, v1
	v_cmp_gt_i32_e32 vcc, s16, v2
	s_and_saveexec_b64 s[0:1], vcc
	s_cbranch_execz .LBB21_20
; %bb.7:
	s_abs_i32 s0, s18
	v_cvt_f32_u32_e32 v1, s0
	v_mov_b32_e32 v5, 0
	s_cmp_ge_i32 s23, s24
	v_mov_b32_e32 v4, v5
	v_rcp_iflag_f32_e32 v1, v1
	v_mov_b32_e32 v32, v5
	v_mov_b32_e32 v28, v5
	;; [unrolled: 1-line block ×3, first 2 shown]
	v_mul_f32_e32 v1, 0x4f7ffffe, v1
	v_cvt_u32_f32_e32 v1, v1
	v_mov_b32_e32 v30, v5
	v_mov_b32_e32 v34, v5
	;; [unrolled: 1-line block ×3, first 2 shown]
	v_readfirstlane_b32 s1, v1
	s_waitcnt lgkmcnt(0)
	s_barrier
	s_cbranch_scc1 .LBB21_12
; %bb.8:
	s_sub_i32 s5, 0, s0
	s_mul_i32 s5, s5, s1
	s_mul_hi_u32 s5, s1, s5
	s_abs_i32 s4, s17
	s_add_i32 s1, s1, s5
	s_ashr_i32 s2, s17, 31
	s_ashr_i32 s3, s18, 31
	s_mul_hi_u32 s1, s4, s1
	s_xor_b32 s2, s2, s3
	s_mul_i32 s3, s1, s0
	s_sub_i32 s3, s4, s3
	s_add_i32 s4, s1, 1
	s_sub_i32 s5, s3, s0
	s_cmp_ge_u32 s3, s0
	s_cselect_b32 s1, s4, s1
	s_cselect_b32 s3, s5, s3
	s_add_i32 s4, s1, 1
	s_cmp_ge_u32 s3, s0
	s_cselect_b32 s0, s4, s1
	s_xor_b32 s0, s0, s2
	s_sub_i32 s4, s0, s2
	v_cvt_f32_u32_e32 v1, s4
	s_bitcmp1_b32 s19, 0
	s_cselect_b64 s[0:1], -1, 0
	s_sub_i32 s2, 0, s4
	v_rcp_iflag_f32_e32 v1, v1
	s_xor_b64 s[0:1], s[0:1], -1
	v_ashrrev_i32_e32 v3, 31, v2
	v_lshrrev_b32_e32 v4, 29, v3
	v_mul_f32_e32 v1, 0x4f7ffffe, v1
	v_cvt_u32_f32_e32 v1, v1
	v_add_u32_e32 v4, v2, v4
	v_ashrrev_i32_e32 v11, 3, v4
	v_cndmask_b32_e64 v36, 0, 1, s[0:1]
	v_readfirstlane_b32 s3, v1
	s_mul_i32 s2, s2, s3
	s_mul_hi_u32 s2, s3, s2
	s_add_i32 s3, s3, s2
	s_mul_hi_u32 s2, s23, s3
	s_mul_i32 s3, s2, s4
	s_sub_i32 s3, s23, s3
	s_add_i32 s5, s2, 1
	s_sub_i32 s6, s3, s4
	s_cmp_ge_u32 s3, s4
	s_cselect_b32 s2, s5, s2
	s_cselect_b32 s3, s6, s3
	s_add_i32 s5, s2, 1
	s_cmp_ge_u32 s3, s4
	s_cselect_b32 s5, s5, s2
	s_mul_i32 s2, s5, s16
	s_ashr_i32 s3, s2, 31
	s_lshr_b32 s3, s3, 29
	v_add_u32_e32 v4, s2, v2
	s_add_i32 s3, s2, s3
	v_ashrrev_i32_e32 v5, 31, v4
	s_ashr_i32 s3, s3, 3
	v_lshl_add_u64 v[4:5], v[4:5], 1, s[12:13]
	global_load_dwordx2 v[6:7], v[4:5], off
	v_add_u32_e32 v4, s3, v11
	v_ashrrev_i32_e32 v5, 31, v4
	v_lshl_add_u64 v[4:5], v[4:5], 2, s[10:11]
	global_load_dword v8, v[4:5], off
	s_lshr_b32 s0, s23, 3
	s_mul_i32 s0, s16, s0
	s_ashr_i32 s1, s0, 31
	s_lshl_b64 s[0:1], s[0:1], 2
	s_add_u32 s0, s8, s0
	v_lshlrev_b32_e32 v9, 4, v0
	s_addc_u32 s1, s9, s1
	v_lshl_add_u64 v[0:1], v[2:3], 2, s[0:1]
	v_and_b32_e32 v35, 16, v9
	s_mov_b32 s18, 0x10001
	v_mov_b32_e32 v31, 0xe400e400
	s_mov_b32 s7, 0xd400
	v_mov_b32_e32 v4, 0
	s_ashr_i32 s17, s16, 31
	s_mov_b32 s6, 0
	s_movk_i32 s19, 0x2c00
	v_mov_b32_e32 v5, v4
	v_mov_b32_e32 v33, v4
	;; [unrolled: 1-line block ×6, first 2 shown]
	s_add_i32 s8, s4, s23
	s_lshl_b64 s[0:1], s[16:17], 4
	s_lshl_b64 s[2:3], s[16:17], 2
	v_mov_b32_e32 v32, v4
	s_waitcnt vmcnt(1)
	v_cvt_f32_f16_e32 v37, v6
	v_cvt_f32_f16_sdwa v38, v6 dst_sel:DWORD dst_unused:UNUSED_PAD src0_sel:WORD_1
	v_cvt_f32_f16_e32 v6, v7
	v_cvt_f32_f16_sdwa v7, v7 dst_sel:DWORD dst_unused:UNUSED_PAD src0_sel:WORD_1
	s_waitcnt vmcnt(0)
	v_lshrrev_b32_e32 v3, v9, v8
	v_lshrrev_b32_e32 v8, 12, v3
	;; [unrolled: 1-line block ×4, first 2 shown]
	v_and_b32_e32 v3, 15, v3
	v_and_b32_e32 v8, 15, v8
	;; [unrolled: 1-line block ×4, first 2 shown]
	v_add_u32_e32 v3, v3, v36
	v_add_u32_e32 v9, v9, v36
	v_add_u32_e32 v8, v8, v36
	v_add_u32_e32 v10, v10, v36
	v_cvt_f32_ubyte0_e32 v12, v3
	v_mad_u32_u24 v39, v3, s18, v31
	v_cvt_f32_ubyte0_e32 v3, v8
	v_cvt_f32_ubyte0_e32 v13, v9
	v_mad_u32_u24 v42, v8, s18, v31
	v_cvt_f32_ubyte0_e32 v8, v10
	v_cvt_pk_f16_f32 v3, v13, v3
	v_cvt_pk_f16_f32 v8, v12, v8
	v_pk_add_f16 v3, v3, s7 op_sel_hi:[1,0] neg_lo:[1,0] neg_hi:[1,0]
	v_pk_add_f16 v12, v8, s7 op_sel_hi:[1,0] neg_lo:[1,0] neg_hi:[1,0]
	v_mad_u32_u24 v40, v9, s18, v31
	v_mad_u32_u24 v41, v10, s18, v31
	v_mul_u32_u24_sdwa v10, v3, s18 dst_sel:DWORD dst_unused:UNUSED_PAD src0_sel:WORD_0 src1_sel:DWORD
	v_mul_u32_u24_sdwa v9, v3, s18 dst_sel:DWORD dst_unused:UNUSED_PAD src0_sel:WORD_1 src1_sel:DWORD
	v_mul_u32_u24_sdwa v8, v12, s18 dst_sel:DWORD dst_unused:UNUSED_PAD src0_sel:WORD_0 src1_sel:DWORD
	v_mul_u32_u24_sdwa v3, v12, s18 dst_sel:DWORD dst_unused:UNUSED_PAD src0_sel:WORD_1 src1_sel:DWORD
	s_branch .LBB21_10
.LBB21_9:                               ;   in Loop: Header=BB21_10 Depth=1
	global_load_dwordx4 v[12:15], v[0:1], off
	v_mov_b32_e32 v26, s6
	s_add_i32 s23, s23, 32
	s_add_i32 s6, s6, 64
	s_cmp_ge_i32 s23, s24
	s_waitcnt vmcnt(0)
	v_and_b32_e32 v16, 0xf000f, v12
	v_and_b32_e32 v17, 0xf000f0, v12
	v_lshrrev_b32_e32 v12, 8, v12
	v_and_b32_e32 v18, 0xf000f, v12
	v_and_b32_e32 v12, 0xf000f0, v12
	v_or_b32_e32 v16, 0x64006400, v16
	v_or_b32_e32 v12, 0x64006400, v12
	;; [unrolled: 1-line block ×3, first 2 shown]
	v_pk_add_f16 v19, v39, v16
	v_pk_fma_f16 v22, v12, s19, v8 op_sel_hi:[1,0,1]
	v_and_b32_e32 v12, 0xf000f, v13
	v_and_b32_e32 v16, 0xf000f0, v13
	v_lshrrev_b32_e32 v13, 8, v13
	v_pk_fma_f16 v20, v17, s19, v8 op_sel_hi:[1,0,1]
	v_and_b32_e32 v17, 0xf000f, v13
	v_and_b32_e32 v13, 0xf000f0, v13
	v_or_b32_e32 v12, 0x64006400, v12
	v_or_b32_e32 v13, 0x64006400, v13
	v_pk_add_f16 v23, v41, v12
	v_pk_fma_f16 v27, v13, s19, v3 op_sel_hi:[1,0,1]
	v_and_b32_e32 v12, 0xf000f, v14
	v_and_b32_e32 v13, 0xf000f0, v14
	v_or_b32_e32 v12, 0x64006400, v12
	v_or_b32_e32 v13, 0x64006400, v13
	v_pk_add_f16 v43, v40, v12
	v_pk_fma_f16 v44, v13, s19, v10 op_sel_hi:[1,0,1]
	v_and_b32_e32 v12, 0xf000f, v15
	v_and_b32_e32 v13, 0xf000f0, v15
	v_or_b32_e32 v16, 0x64006400, v16
	v_lshrrev_b32_e32 v14, 8, v14
	v_or_b32_e32 v12, 0x64006400, v12
	v_or_b32_e32 v13, 0x64006400, v13
	v_pk_fma_f16 v24, v16, s19, v3 op_sel_hi:[1,0,1]
	v_and_b32_e32 v16, 0xf000f, v14
	v_and_b32_e32 v14, 0xf000f0, v14
	v_pk_add_f16 v47, v42, v12
	v_pk_fma_f16 v48, v13, s19, v9 op_sel_hi:[1,0,1]
	ds_read2_b32 v[12:13], v26 offset1:1
	v_or_b32_e32 v14, 0x64006400, v14
	v_pk_fma_f16 v46, v14, s19, v10 op_sel_hi:[1,0,1]
	v_lshrrev_b32_e32 v14, 8, v15
	v_and_b32_e32 v15, 0xf000f, v14
	v_and_b32_e32 v14, 0xf000f0, v14
	v_or_b32_e32 v14, 0x64006400, v14
	v_or_b32_e32 v16, 0x64006400, v16
	;; [unrolled: 1-line block ×3, first 2 shown]
	v_pk_fma_f16 v50, v14, s19, v9 op_sel_hi:[1,0,1]
	s_waitcnt lgkmcnt(0)
	v_pk_fma_f16 v14, v19, v12, 0
	v_pk_add_f16 v45, v40, v16
	v_pk_add_f16 v49, v42, v15
	v_pk_fma_f16 v16, v20, v13, v14
	ds_read2_b32 v[14:15], v26 offset0:2 offset1:3
	v_or_b32_e32 v18, 0x64006400, v18
	v_pk_add_f16 v21, v39, v18
	v_or_b32_e32 v17, 0x64006400, v17
	v_pk_add_f16 v25, v41, v17
	s_waitcnt lgkmcnt(0)
	v_pk_fma_f16 v16, v21, v14, v16
	s_nop 0
	v_pk_fma_f16 v16, v22, v15, v16
	s_nop 0
	v_cvt_f32_f16_e32 v17, v16
	v_cvt_f32_f16_sdwa v16, v16 dst_sel:DWORD dst_unused:UNUSED_PAD src0_sel:WORD_1
	v_add_f32_e32 v16, v16, v17
	v_fmac_f32_e32 v33, v16, v37
	v_pk_fma_f16 v16, v23, v12, 0
	s_nop 0
	v_pk_fma_f16 v16, v24, v13, v16
	s_nop 0
	;; [unrolled: 2-line block ×4, first 2 shown]
	v_cvt_f32_f16_e32 v17, v16
	v_cvt_f32_f16_sdwa v16, v16 dst_sel:DWORD dst_unused:UNUSED_PAD src0_sel:WORD_1
	v_add_f32_e32 v16, v16, v17
	v_fmac_f32_e32 v34, v16, v38
	v_pk_fma_f16 v16, v43, v12, 0
	v_pk_fma_f16 v12, v47, v12, 0
	v_pk_fma_f16 v16, v44, v13, v16
	v_pk_fma_f16 v12, v48, v13, v12
	v_pk_fma_f16 v16, v45, v14, v16
	v_pk_fma_f16 v12, v49, v14, v12
	v_pk_fma_f16 v16, v46, v15, v16
	v_pk_fma_f16 v12, v50, v15, v12
	v_cvt_f32_f16_e32 v17, v16
	v_cvt_f32_f16_sdwa v16, v16 dst_sel:DWORD dst_unused:UNUSED_PAD src0_sel:WORD_1
	v_cvt_f32_f16_e32 v13, v12
	v_cvt_f32_f16_sdwa v12, v12 dst_sel:DWORD dst_unused:UNUSED_PAD src0_sel:WORD_1
	v_add_f32_e32 v16, v16, v17
	v_fmac_f32_e32 v30, v16, v6
	ds_read2_b32 v[16:17], v26 offset0:64 offset1:65
	v_add_f32_e32 v12, v12, v13
	v_fmac_f32_e32 v29, v12, v7
	s_waitcnt lgkmcnt(0)
	v_pk_fma_f16 v12, v19, v16, 0
	ds_read2_b32 v[18:19], v26 offset0:66 offset1:67
	v_pk_fma_f16 v12, v20, v17, v12
	s_waitcnt lgkmcnt(0)
	v_pk_fma_f16 v12, v21, v18, v12
	s_nop 0
	v_pk_fma_f16 v12, v22, v19, v12
	v_lshl_add_u64 v[20:21], v[0:1], 0, s[2:3]
	v_cvt_f32_f16_e32 v13, v12
	v_cvt_f32_f16_sdwa v12, v12 dst_sel:DWORD dst_unused:UNUSED_PAD src0_sel:WORD_1
	v_lshl_add_u64 v[0:1], v[0:1], 0, s[0:1]
	v_add_f32_e32 v12, v12, v13
	v_fmac_f32_e32 v28, v12, v37
	v_pk_fma_f16 v12, v23, v16, 0
	s_nop 0
	v_pk_fma_f16 v12, v24, v17, v12
	s_nop 0
	;; [unrolled: 2-line block ×4, first 2 shown]
	v_cvt_f32_f16_e32 v13, v12
	v_cvt_f32_f16_sdwa v12, v12 dst_sel:DWORD dst_unused:UNUSED_PAD src0_sel:WORD_1
	v_add_f32_e32 v12, v12, v13
	v_fmac_f32_e32 v32, v12, v38
	v_pk_fma_f16 v12, v43, v16, 0
	s_nop 0
	v_pk_fma_f16 v12, v44, v17, v12
	s_nop 0
	;; [unrolled: 2-line block ×4, first 2 shown]
	v_cvt_f32_f16_e32 v12, v13
	v_cvt_f32_f16_sdwa v14, v13 dst_sel:DWORD dst_unused:UNUSED_PAD src0_sel:WORD_1
	v_pk_fma_f16 v13, v47, v16, 0
	s_nop 0
	v_pk_fma_f16 v13, v48, v17, v13
	s_nop 0
	;; [unrolled: 2-line block ×3, first 2 shown]
	v_pk_fma_f16 v13, v50, v19, v13
	global_load_dwordx4 v[16:19], v[20:21], off
	v_cvt_f32_f16_sdwa v15, v13 dst_sel:DWORD dst_unused:UNUSED_PAD src0_sel:WORD_1
	v_cvt_f32_f16_e32 v13, v13
	v_pk_add_f32 v[12:13], v[12:13], v[14:15]
	s_nop 0
	v_pk_fma_f32 v[4:5], v[12:13], v[6:7], v[4:5]
	s_waitcnt vmcnt(0)
	v_and_b32_e32 v22, 0xf000f, v16
	v_and_b32_e32 v23, 0xf000f0, v16
	v_lshrrev_b32_e32 v16, 8, v16
	v_and_b32_e32 v24, 0xf000f, v16
	v_and_b32_e32 v16, 0xf000f0, v16
	v_or_b32_e32 v22, 0x64006400, v22
	v_or_b32_e32 v16, 0x64006400, v16
	;; [unrolled: 1-line block ×3, first 2 shown]
	v_pk_add_f16 v25, v39, v22
	v_pk_fma_f16 v44, v16, s19, v8 op_sel_hi:[1,0,1]
	v_and_b32_e32 v16, 0xf000f, v17
	v_and_b32_e32 v22, 0xf000f0, v17
	v_lshrrev_b32_e32 v17, 8, v17
	v_pk_fma_f16 v27, v23, s19, v8 op_sel_hi:[1,0,1]
	v_and_b32_e32 v23, 0xf000f, v17
	v_and_b32_e32 v17, 0xf000f0, v17
	v_or_b32_e32 v16, 0x64006400, v16
	v_or_b32_e32 v17, 0x64006400, v17
	v_pk_add_f16 v45, v41, v16
	v_pk_fma_f16 v48, v17, s19, v3 op_sel_hi:[1,0,1]
	v_and_b32_e32 v16, 0xf000f, v18
	v_and_b32_e32 v17, 0xf000f0, v18
	v_or_b32_e32 v16, 0x64006400, v16
	v_or_b32_e32 v17, 0x64006400, v17
	v_pk_add_f16 v49, v40, v16
	v_pk_fma_f16 v50, v17, s19, v10 op_sel_hi:[1,0,1]
	v_and_b32_e32 v16, 0xf000f, v19
	v_and_b32_e32 v17, 0xf000f0, v19
	v_or_b32_e32 v22, 0x64006400, v22
	v_lshrrev_b32_e32 v18, 8, v18
	v_or_b32_e32 v16, 0x64006400, v16
	v_or_b32_e32 v17, 0x64006400, v17
	v_pk_fma_f16 v46, v22, s19, v3 op_sel_hi:[1,0,1]
	v_and_b32_e32 v22, 0xf000f, v18
	v_and_b32_e32 v18, 0xf000f0, v18
	v_pk_add_f16 v53, v42, v16
	v_pk_fma_f16 v54, v17, s19, v9 op_sel_hi:[1,0,1]
	ds_read2_b32 v[16:17], v26 offset0:4 offset1:5
	v_or_b32_e32 v18, 0x64006400, v18
	v_pk_fma_f16 v52, v18, s19, v10 op_sel_hi:[1,0,1]
	v_lshrrev_b32_e32 v18, 8, v19
	v_and_b32_e32 v19, 0xf000f, v18
	v_and_b32_e32 v18, 0xf000f0, v18
	v_or_b32_e32 v18, 0x64006400, v18
	v_or_b32_e32 v22, 0x64006400, v22
	;; [unrolled: 1-line block ×3, first 2 shown]
	v_pk_fma_f16 v56, v18, s19, v9 op_sel_hi:[1,0,1]
	s_waitcnt lgkmcnt(0)
	v_pk_fma_f16 v18, v25, v16, 0
	v_pk_add_f16 v51, v40, v22
	v_pk_add_f16 v55, v42, v19
	v_pk_fma_f16 v22, v27, v17, v18
	ds_read2_b32 v[18:19], v26 offset0:6 offset1:7
	v_or_b32_e32 v24, 0x64006400, v24
	v_pk_add_f16 v43, v39, v24
	v_or_b32_e32 v23, 0x64006400, v23
	v_pk_add_f16 v47, v41, v23
	s_waitcnt lgkmcnt(0)
	v_pk_fma_f16 v22, v43, v18, v22
	s_nop 0
	v_pk_fma_f16 v22, v44, v19, v22
	s_nop 0
	v_cvt_f32_f16_e32 v23, v22
	v_cvt_f32_f16_sdwa v22, v22 dst_sel:DWORD dst_unused:UNUSED_PAD src0_sel:WORD_1
	v_add_f32_e32 v22, v22, v23
	v_fmac_f32_e32 v33, v22, v37
	v_pk_fma_f16 v22, v45, v16, 0
	s_nop 0
	v_pk_fma_f16 v22, v46, v17, v22
	s_nop 0
	;; [unrolled: 2-line block ×4, first 2 shown]
	v_cvt_f32_f16_e32 v23, v22
	v_cvt_f32_f16_sdwa v22, v22 dst_sel:DWORD dst_unused:UNUSED_PAD src0_sel:WORD_1
	v_add_f32_e32 v22, v22, v23
	v_fmac_f32_e32 v34, v22, v38
	v_pk_fma_f16 v22, v49, v16, 0
	v_pk_fma_f16 v16, v53, v16, 0
	v_pk_fma_f16 v22, v50, v17, v22
	v_pk_fma_f16 v16, v54, v17, v16
	v_pk_fma_f16 v22, v51, v18, v22
	v_pk_fma_f16 v16, v55, v18, v16
	v_pk_fma_f16 v22, v52, v19, v22
	v_pk_fma_f16 v16, v56, v19, v16
	v_cvt_f32_f16_e32 v23, v22
	v_cvt_f32_f16_sdwa v22, v22 dst_sel:DWORD dst_unused:UNUSED_PAD src0_sel:WORD_1
	v_cvt_f32_f16_e32 v17, v16
	v_cvt_f32_f16_sdwa v16, v16 dst_sel:DWORD dst_unused:UNUSED_PAD src0_sel:WORD_1
	v_add_f32_e32 v22, v22, v23
	v_fmac_f32_e32 v30, v22, v6
	ds_read2_b32 v[22:23], v26 offset0:68 offset1:69
	v_add_f32_e32 v16, v16, v17
	v_fmac_f32_e32 v29, v16, v7
	s_waitcnt lgkmcnt(0)
	v_pk_fma_f16 v16, v25, v22, 0
	ds_read2_b32 v[24:25], v26 offset0:70 offset1:71
	v_pk_fma_f16 v16, v27, v23, v16
	s_waitcnt lgkmcnt(0)
	v_pk_fma_f16 v16, v43, v24, v16
	s_nop 0
	v_pk_fma_f16 v16, v44, v25, v16
	s_nop 0
	v_cvt_f32_f16_e32 v17, v16
	v_cvt_f32_f16_sdwa v16, v16 dst_sel:DWORD dst_unused:UNUSED_PAD src0_sel:WORD_1
	v_add_f32_e32 v16, v16, v17
	v_fmac_f32_e32 v28, v16, v37
	v_pk_fma_f16 v16, v45, v22, 0
	s_nop 0
	v_pk_fma_f16 v16, v46, v23, v16
	s_nop 0
	v_pk_fma_f16 v16, v47, v24, v16
	ds_read2_b32 v[46:47], v26 offset0:74 offset1:75
	v_pk_fma_f16 v16, v48, v25, v16
	s_nop 0
	v_cvt_f32_f16_e32 v17, v16
	v_cvt_f32_f16_sdwa v16, v16 dst_sel:DWORD dst_unused:UNUSED_PAD src0_sel:WORD_1
	v_add_f32_e32 v16, v16, v17
	v_fmac_f32_e32 v32, v16, v38
	v_pk_fma_f16 v16, v49, v22, 0
	s_nop 0
	v_pk_fma_f16 v16, v50, v23, v16
	s_nop 0
	;; [unrolled: 2-line block ×4, first 2 shown]
	v_cvt_f32_f16_e32 v16, v17
	v_cvt_f32_f16_sdwa v18, v17 dst_sel:DWORD dst_unused:UNUSED_PAD src0_sel:WORD_1
	v_pk_fma_f16 v17, v53, v22, 0
	s_nop 0
	v_pk_fma_f16 v17, v54, v23, v17
	s_nop 0
	;; [unrolled: 2-line block ×3, first 2 shown]
	v_pk_fma_f16 v17, v56, v25, v17
	v_lshl_add_u64 v[24:25], v[20:21], 0, s[2:3]
	global_load_dwordx4 v[20:23], v[24:25], off
	v_lshl_add_u64 v[24:25], v[24:25], 0, s[2:3]
	v_cvt_f32_f16_sdwa v19, v17 dst_sel:DWORD dst_unused:UNUSED_PAD src0_sel:WORD_1
	v_cvt_f32_f16_e32 v17, v17
	v_pk_add_f32 v[12:13], v[16:17], v[18:19]
	s_nop 0
	v_pk_fma_f32 v[4:5], v[12:13], v[6:7], v[4:5]
	s_waitcnt vmcnt(0)
	v_and_b32_e32 v27, 0xf000f, v20
	v_and_b32_e32 v43, 0xf000f0, v20
	v_lshrrev_b32_e32 v20, 8, v20
	v_and_b32_e32 v44, 0xf000f, v20
	v_and_b32_e32 v20, 0xf000f0, v20
	v_or_b32_e32 v44, 0x64006400, v44
	v_or_b32_e32 v20, 0x64006400, v20
	v_pk_add_f16 v48, v39, v44
	v_pk_fma_f16 v49, v20, s19, v8 op_sel_hi:[1,0,1]
	v_and_b32_e32 v20, 0xf000f, v21
	v_and_b32_e32 v44, 0xf000f0, v21
	v_lshrrev_b32_e32 v21, 8, v21
	v_and_b32_e32 v45, 0xf000f, v21
	v_and_b32_e32 v21, 0xf000f0, v21
	v_or_b32_e32 v20, 0x64006400, v20
	v_or_b32_e32 v21, 0x64006400, v21
	v_pk_add_f16 v50, v41, v20
	v_pk_fma_f16 v53, v21, s19, v3 op_sel_hi:[1,0,1]
	v_and_b32_e32 v20, 0xf000f, v22
	v_and_b32_e32 v21, 0xf000f0, v22
	v_or_b32_e32 v20, 0x64006400, v20
	v_or_b32_e32 v21, 0x64006400, v21
	v_pk_add_f16 v54, v40, v20
	v_pk_fma_f16 v55, v21, s19, v10 op_sel_hi:[1,0,1]
	v_and_b32_e32 v20, 0xf000f, v23
	v_and_b32_e32 v21, 0xf000f0, v23
	v_or_b32_e32 v44, 0x64006400, v44
	v_lshrrev_b32_e32 v22, 8, v22
	v_or_b32_e32 v20, 0x64006400, v20
	v_or_b32_e32 v21, 0x64006400, v21
	v_pk_fma_f16 v51, v44, s19, v3 op_sel_hi:[1,0,1]
	v_and_b32_e32 v44, 0xf000f, v22
	v_and_b32_e32 v22, 0xf000f0, v22
	v_pk_add_f16 v58, v42, v20
	v_pk_fma_f16 v59, v21, s19, v9 op_sel_hi:[1,0,1]
	ds_read2_b32 v[20:21], v26 offset0:8 offset1:9
	v_or_b32_e32 v22, 0x64006400, v22
	v_pk_fma_f16 v57, v22, s19, v10 op_sel_hi:[1,0,1]
	v_lshrrev_b32_e32 v22, 8, v23
	v_or_b32_e32 v27, 0x64006400, v27
	v_and_b32_e32 v23, 0xf000f, v22
	v_and_b32_e32 v22, 0xf000f0, v22
	v_or_b32_e32 v43, 0x64006400, v43
	v_pk_add_f16 v27, v39, v27
	v_or_b32_e32 v22, 0x64006400, v22
	v_pk_fma_f16 v43, v43, s19, v8 op_sel_hi:[1,0,1]
	v_or_b32_e32 v44, 0x64006400, v44
	v_or_b32_e32 v23, 0x64006400, v23
	v_pk_fma_f16 v61, v22, s19, v9 op_sel_hi:[1,0,1]
	s_waitcnt lgkmcnt(0)
	v_pk_fma_f16 v22, v27, v20, 0
	v_pk_add_f16 v56, v40, v44
	v_pk_add_f16 v60, v42, v23
	v_pk_fma_f16 v44, v43, v21, v22
	ds_read2_b32 v[22:23], v26 offset0:10 offset1:11
	v_or_b32_e32 v45, 0x64006400, v45
	v_pk_add_f16 v52, v41, v45
	s_waitcnt lgkmcnt(0)
	v_pk_fma_f16 v44, v48, v22, v44
	s_nop 0
	v_pk_fma_f16 v44, v49, v23, v44
	s_nop 0
	v_cvt_f32_f16_e32 v45, v44
	v_cvt_f32_f16_sdwa v44, v44 dst_sel:DWORD dst_unused:UNUSED_PAD src0_sel:WORD_1
	v_add_f32_e32 v44, v44, v45
	v_fmac_f32_e32 v33, v44, v37
	v_pk_fma_f16 v44, v50, v20, 0
	s_nop 0
	v_pk_fma_f16 v44, v51, v21, v44
	s_nop 0
	;; [unrolled: 2-line block ×4, first 2 shown]
	v_cvt_f32_f16_e32 v45, v44
	v_cvt_f32_f16_sdwa v44, v44 dst_sel:DWORD dst_unused:UNUSED_PAD src0_sel:WORD_1
	v_add_f32_e32 v44, v44, v45
	v_fmac_f32_e32 v34, v44, v38
	v_pk_fma_f16 v44, v54, v20, 0
	v_pk_fma_f16 v20, v58, v20, 0
	;; [unrolled: 1-line block ×8, first 2 shown]
	v_cvt_f32_f16_e32 v45, v44
	v_cvt_f32_f16_sdwa v44, v44 dst_sel:DWORD dst_unused:UNUSED_PAD src0_sel:WORD_1
	v_cvt_f32_f16_e32 v21, v20
	v_cvt_f32_f16_sdwa v20, v20 dst_sel:DWORD dst_unused:UNUSED_PAD src0_sel:WORD_1
	v_add_f32_e32 v44, v44, v45
	v_fmac_f32_e32 v30, v44, v6
	ds_read2_b32 v[44:45], v26 offset0:72 offset1:73
	v_add_f32_e32 v20, v20, v21
	v_fmac_f32_e32 v29, v20, v7
	s_waitcnt lgkmcnt(0)
	v_pk_fma_f16 v20, v27, v44, 0
	s_nop 0
	v_pk_fma_f16 v20, v43, v45, v20
	s_nop 0
	;; [unrolled: 2-line block ×4, first 2 shown]
	v_cvt_f32_f16_e32 v21, v20
	v_cvt_f32_f16_sdwa v20, v20 dst_sel:DWORD dst_unused:UNUSED_PAD src0_sel:WORD_1
	v_add_f32_e32 v20, v20, v21
	v_fmac_f32_e32 v28, v20, v37
	v_pk_fma_f16 v20, v50, v44, 0
	s_nop 0
	v_pk_fma_f16 v20, v51, v45, v20
	s_nop 0
	;; [unrolled: 2-line block ×3, first 2 shown]
	v_pk_fma_f16 v20, v53, v47, v20
	global_load_dwordx4 v[50:53], v[24:25], off
	v_cvt_f32_f16_e32 v21, v20
	v_cvt_f32_f16_sdwa v20, v20 dst_sel:DWORD dst_unused:UNUSED_PAD src0_sel:WORD_1
	v_add_f32_e32 v20, v20, v21
	v_fmac_f32_e32 v32, v20, v38
	v_pk_fma_f16 v20, v54, v44, 0
	s_waitcnt vmcnt(0)
	v_and_b32_e32 v24, 0xf000f, v50
	v_pk_fma_f16 v20, v55, v45, v20
	v_and_b32_e32 v25, 0xf000f0, v50
	v_pk_fma_f16 v20, v56, v46, v20
	v_lshrrev_b32_e32 v27, 8, v50
	v_pk_fma_f16 v21, v57, v47, v20
	v_or_b32_e32 v24, 0x64006400, v24
	v_cvt_f32_f16_e32 v20, v21
	v_cvt_f32_f16_sdwa v22, v21 dst_sel:DWORD dst_unused:UNUSED_PAD src0_sel:WORD_1
	v_pk_fma_f16 v21, v58, v44, 0
	v_or_b32_e32 v25, 0x64006400, v25
	v_and_b32_e32 v43, 0xf000f, v27
	v_and_b32_e32 v27, 0xf000f0, v27
	v_pk_fma_f16 v21, v59, v45, v21
	v_or_b32_e32 v44, 0x64006400, v27
	v_pk_add_f16 v27, v39, v24
	v_pk_fma_f16 v57, v25, s19, v8 op_sel_hi:[1,0,1]
	v_and_b32_e32 v24, 0xf000f, v51
	v_and_b32_e32 v25, 0xf000f0, v51
	v_lshrrev_b32_e32 v45, 8, v51
	v_pk_fma_f16 v21, v60, v46, v21
	v_or_b32_e32 v24, 0x64006400, v24
	v_or_b32_e32 v25, 0x64006400, v25
	v_and_b32_e32 v46, 0xf000f, v45
	v_and_b32_e32 v45, 0xf000f0, v45
	v_pk_fma_f16 v21, v61, v47, v21
	v_or_b32_e32 v47, 0x64006400, v46
	v_or_b32_e32 v48, 0x64006400, v45
	v_pk_add_f16 v45, v41, v24
	v_pk_fma_f16 v46, v25, s19, v3 op_sel_hi:[1,0,1]
	v_and_b32_e32 v24, 0xf000f, v52
	v_and_b32_e32 v25, 0xf000f0, v52
	v_lshrrev_b32_e32 v49, 8, v52
	v_or_b32_e32 v24, 0x64006400, v24
	v_or_b32_e32 v25, 0x64006400, v25
	v_and_b32_e32 v50, 0xf000f, v49
	v_and_b32_e32 v49, 0xf000f0, v49
	v_or_b32_e32 v51, 0x64006400, v50
	v_or_b32_e32 v52, 0x64006400, v49
	v_pk_add_f16 v49, v40, v24
	v_pk_fma_f16 v50, v25, s19, v10 op_sel_hi:[1,0,1]
	v_and_b32_e32 v24, 0xf000f, v53
	v_and_b32_e32 v25, 0xf000f0, v53
	v_lshrrev_b32_e32 v53, 8, v53
	v_or_b32_e32 v24, 0x64006400, v24
	v_or_b32_e32 v25, 0x64006400, v25
	v_and_b32_e32 v54, 0xf000f, v53
	v_and_b32_e32 v53, 0xf000f0, v53
	v_or_b32_e32 v55, 0x64006400, v54
	v_or_b32_e32 v56, 0x64006400, v53
	v_pk_add_f16 v53, v42, v24
	v_pk_fma_f16 v54, v25, s19, v9 op_sel_hi:[1,0,1]
	ds_read2_b32 v[24:25], v26 offset0:12 offset1:13
	v_or_b32_e32 v43, 0x64006400, v43
	v_pk_add_f16 v43, v39, v43
	v_pk_fma_f16 v44, v44, s19, v8 op_sel_hi:[1,0,1]
	v_pk_add_f16 v47, v41, v47
	s_waitcnt lgkmcnt(0)
	v_pk_fma_f16 v58, v27, v24, 0
	v_pk_fma_f16 v48, v48, s19, v3 op_sel_hi:[1,0,1]
	v_pk_fma_f16 v60, v57, v25, v58
	ds_read2_b32 v[58:59], v26 offset0:14 offset1:15
	v_pk_add_f16 v55, v42, v55
	v_pk_fma_f16 v56, v56, s19, v9 op_sel_hi:[1,0,1]
	v_pk_add_f16 v51, v40, v51
	v_pk_fma_f16 v52, v52, s19, v10 op_sel_hi:[1,0,1]
	s_waitcnt lgkmcnt(0)
	v_pk_fma_f16 v60, v43, v58, v60
	v_cvt_f32_f16_sdwa v23, v21 dst_sel:DWORD dst_unused:UNUSED_PAD src0_sel:WORD_1
	v_pk_fma_f16 v60, v44, v59, v60
	v_cvt_f32_f16_e32 v21, v21
	v_cvt_f32_f16_e32 v61, v60
	v_cvt_f32_f16_sdwa v60, v60 dst_sel:DWORD dst_unused:UNUSED_PAD src0_sel:WORD_1
	v_pk_add_f32 v[12:13], v[20:21], v[22:23]
	s_nop 0
	v_pk_fma_f32 v[4:5], v[12:13], v[6:7], v[4:5]
	v_add_f32_e32 v60, v60, v61
	v_fmac_f32_e32 v33, v60, v37
	v_pk_fma_f16 v60, v45, v24, 0
	s_nop 0
	v_pk_fma_f16 v60, v46, v25, v60
	s_nop 0
	;; [unrolled: 2-line block ×4, first 2 shown]
	v_cvt_f32_f16_e32 v61, v60
	v_cvt_f32_f16_sdwa v60, v60 dst_sel:DWORD dst_unused:UNUSED_PAD src0_sel:WORD_1
	v_add_f32_e32 v60, v60, v61
	v_fmac_f32_e32 v34, v60, v38
	v_pk_fma_f16 v60, v49, v24, 0
	v_pk_fma_f16 v24, v53, v24, 0
	;; [unrolled: 1-line block ×8, first 2 shown]
	v_cvt_f32_f16_e32 v61, v60
	v_cvt_f32_f16_e32 v25, v24
	v_cvt_f32_f16_sdwa v24, v24 dst_sel:DWORD dst_unused:UNUSED_PAD src0_sel:WORD_1
	v_cvt_f32_f16_sdwa v60, v60 dst_sel:DWORD dst_unused:UNUSED_PAD src0_sel:WORD_1
	v_add_f32_e32 v24, v24, v25
	v_fmac_f32_e32 v29, v24, v7
	ds_read2_b32 v[24:25], v26 offset0:76 offset1:77
	v_add_f32_e32 v60, v60, v61
	v_fmac_f32_e32 v30, v60, v6
	s_waitcnt lgkmcnt(0)
	v_pk_fma_f16 v27, v27, v24, 0
	s_nop 0
	v_pk_fma_f16 v57, v57, v25, v27
	ds_read2_b32 v[26:27], v26 offset0:78 offset1:79
	s_waitcnt lgkmcnt(0)
	v_pk_fma_f16 v43, v43, v26, v57
	s_nop 0
	v_pk_fma_f16 v43, v44, v27, v43
	s_nop 0
	v_cvt_f32_f16_e32 v44, v43
	v_cvt_f32_f16_sdwa v43, v43 dst_sel:DWORD dst_unused:UNUSED_PAD src0_sel:WORD_1
	v_add_f32_e32 v43, v43, v44
	v_fmac_f32_e32 v28, v43, v37
	v_pk_fma_f16 v43, v45, v24, 0
	s_nop 0
	v_pk_fma_f16 v43, v46, v25, v43
	s_nop 0
	;; [unrolled: 2-line block ×4, first 2 shown]
	v_cvt_f32_f16_e32 v44, v43
	v_cvt_f32_f16_sdwa v43, v43 dst_sel:DWORD dst_unused:UNUSED_PAD src0_sel:WORD_1
	v_add_f32_e32 v43, v43, v44
	v_fmac_f32_e32 v32, v43, v38
	v_pk_fma_f16 v43, v49, v24, 0
	v_pk_fma_f16 v24, v53, v24, 0
	;; [unrolled: 1-line block ×8, first 2 shown]
	v_cvt_f32_f16_e32 v44, v43
	v_cvt_f32_f16_sdwa v46, v43 dst_sel:DWORD dst_unused:UNUSED_PAD src0_sel:WORD_1
	v_cvt_f32_f16_sdwa v47, v24 dst_sel:DWORD dst_unused:UNUSED_PAD src0_sel:WORD_1
	v_cvt_f32_f16_e32 v45, v24
	v_pk_add_f32 v[12:13], v[44:45], v[46:47]
	s_nop 0
	v_pk_fma_f32 v[4:5], v[12:13], v[6:7], v[4:5]
	s_cbranch_scc1 .LBB21_12
.LBB21_10:                              ; =>This Inner Loop Header: Depth=1
	s_cmp_lg_u32 s23, s8
	s_cbranch_scc1 .LBB21_9
; %bb.11:                               ;   in Loop: Header=BB21_10 Depth=1
	s_add_i32 s5, s5, 1
	s_mul_i32 s9, s5, s16
	s_ashr_i32 s17, s9, 31
	s_lshr_b32 s17, s17, 29
	s_add_i32 s17, s9, s17
	s_ashr_i32 s17, s17, 3
	v_add_u32_e32 v8, s17, v11
	v_ashrrev_i32_e32 v9, 31, v8
	v_lshl_add_u64 v[8:9], v[8:9], 2, s[10:11]
	global_load_dword v3, v[8:9], off
	v_add_u32_e32 v6, s9, v2
	v_ashrrev_i32_e32 v7, 31, v6
	v_lshl_add_u64 v[6:7], v[6:7], 1, s[12:13]
	global_load_dwordx2 v[6:7], v[6:7], off
	s_add_i32 s8, s8, s4
	s_waitcnt vmcnt(1)
	v_lshrrev_b32_e32 v3, v35, v3
	v_lshrrev_b32_e32 v8, 4, v3
	v_and_b32_e32 v9, 15, v3
	v_lshrrev_b32_e32 v10, 12, v3
	v_lshrrev_b32_e32 v3, 8, v3
	v_and_b32_e32 v8, 15, v8
	v_and_b32_e32 v10, 15, v10
	;; [unrolled: 1-line block ×3, first 2 shown]
	v_add_u32_e32 v9, v9, v36
	v_add_u32_e32 v8, v8, v36
	;; [unrolled: 1-line block ×4, first 2 shown]
	s_waitcnt vmcnt(0)
	v_cvt_f32_f16_e32 v37, v6
	v_cvt_f32_f16_sdwa v38, v6 dst_sel:DWORD dst_unused:UNUSED_PAD src0_sel:WORD_1
	v_cvt_f32_f16_e32 v6, v7
	v_cvt_f32_f16_sdwa v7, v7 dst_sel:DWORD dst_unused:UNUSED_PAD src0_sel:WORD_1
	v_mad_u32_u24 v39, v9, s18, v31
	v_cvt_f32_ubyte0_e32 v9, v9
	v_cvt_f32_ubyte0_e32 v12, v8
	v_mad_u32_u24 v41, v8, s18, v31
	v_mad_u32_u24 v40, v3, s18, v31
	v_cvt_f32_ubyte0_e32 v8, v10
	v_cvt_f32_ubyte0_e32 v3, v3
	v_cvt_pk_f16_f32 v9, v9, v12
	v_cvt_pk_f16_f32 v3, v3, v8
	v_pk_add_f16 v9, v9, s7 op_sel_hi:[1,0] neg_lo:[1,0] neg_hi:[1,0]
	v_pk_add_f16 v12, v3, s7 op_sel_hi:[1,0] neg_lo:[1,0] neg_hi:[1,0]
	v_mad_u32_u24 v42, v10, s18, v31
	v_mul_u32_u24_sdwa v8, v9, s18 dst_sel:DWORD dst_unused:UNUSED_PAD src0_sel:WORD_0 src1_sel:DWORD
	v_mul_u32_u24_sdwa v3, v9, s18 dst_sel:DWORD dst_unused:UNUSED_PAD src0_sel:WORD_1 src1_sel:DWORD
	v_mul_u32_u24_sdwa v10, v12, s18 dst_sel:DWORD dst_unused:UNUSED_PAD src0_sel:WORD_0 src1_sel:DWORD
	v_mul_u32_u24_sdwa v9, v12, s18 dst_sel:DWORD dst_unused:UNUSED_PAD src0_sel:WORD_1 src1_sel:DWORD
	s_branch .LBB21_9
.LBB21_12:
	s_mul_i32 s22, s22, s16
	v_add_u32_e32 v0, s22, v2
	v_ashrrev_i32_e32 v1, 31, v0
	v_lshl_add_u64 v[2:3], v[0:1], 1, s[14:15]
	global_load_dword v7, v[2:3], off
	v_cvt_pk_f16_f32 v1, v33, v34
	s_mov_b64 s[0:1], 0
.LBB21_13:                              ; =>This Inner Loop Header: Depth=1
	s_waitcnt vmcnt(0)
	v_pk_add_f16 v6, v1, v7
	global_atomic_cmpswap v6, v[2:3], v[6:7], off sc0
	s_waitcnt vmcnt(0)
	v_cmp_eq_u32_e32 vcc, v7, v6
	s_or_b64 s[0:1], vcc, s[0:1]
	v_mov_b32_e32 v7, v6
	s_andn2_b64 exec, exec, s[0:1]
	s_cbranch_execnz .LBB21_13
; %bb.14:
	s_or_b64 exec, exec, s[0:1]
	global_load_dword v7, v[2:3], off offset:4
	v_cvt_pk_f16_f32 v1, v30, v29
	s_mov_b64 s[0:1], 0
.LBB21_15:                              ; =>This Inner Loop Header: Depth=1
	s_waitcnt vmcnt(0)
	v_pk_add_f16 v6, v1, v7
	global_atomic_cmpswap v6, v[2:3], v[6:7], off offset:4 sc0
	s_waitcnt vmcnt(0)
	v_cmp_eq_u32_e32 vcc, v7, v6
	s_or_b64 s[0:1], vcc, s[0:1]
	v_mov_b32_e32 v7, v6
	s_andn2_b64 exec, exec, s[0:1]
	s_cbranch_execnz .LBB21_15
; %bb.16:
	s_or_b64 exec, exec, s[0:1]
	v_add_u32_e32 v0, s16, v0
	v_ashrrev_i32_e32 v1, 31, v0
	v_lshl_add_u64 v[0:1], v[0:1], 1, s[14:15]
	global_load_dword v3, v[0:1], off
	v_cvt_pk_f16_f32 v6, v28, v32
	s_mov_b64 s[0:1], 0
.LBB21_17:                              ; =>This Inner Loop Header: Depth=1
	s_waitcnt vmcnt(0)
	v_pk_add_f16 v2, v6, v3
	global_atomic_cmpswap v2, v[0:1], v[2:3], off sc0
	s_waitcnt vmcnt(0)
	v_cmp_eq_u32_e32 vcc, v3, v2
	s_or_b64 s[0:1], vcc, s[0:1]
	v_mov_b32_e32 v3, v2
	s_andn2_b64 exec, exec, s[0:1]
	s_cbranch_execnz .LBB21_17
; %bb.18:
	s_or_b64 exec, exec, s[0:1]
	global_load_dword v3, v[0:1], off offset:4
	v_cvt_pk_f16_f32 v4, v4, v5
	s_mov_b64 s[0:1], 0
.LBB21_19:                              ; =>This Inner Loop Header: Depth=1
	s_waitcnt vmcnt(0)
	v_pk_add_f16 v2, v4, v3
	global_atomic_cmpswap v2, v[0:1], v[2:3], off offset:4 sc0
	s_waitcnt vmcnt(0)
	v_cmp_eq_u32_e32 vcc, v3, v2
	s_or_b64 s[0:1], vcc, s[0:1]
	v_mov_b32_e32 v3, v2
	s_andn2_b64 exec, exec, s[0:1]
	s_cbranch_execnz .LBB21_19
.LBB21_20:
	s_endpgm
	.section	.rodata,"a",@progbits
	.p2align	6, 0x0
	.amdhsa_kernel _ZN4vllm4gptq33gemm_half_q_half_gptq_4bit_kernelILb1ELi2EEEvPK6__halfPKjS6_S4_PS2_iiiibPKi
		.amdhsa_group_segment_fixed_size 512
		.amdhsa_private_segment_fixed_size 0
		.amdhsa_kernarg_size 72
		.amdhsa_user_sgpr_count 2
		.amdhsa_user_sgpr_dispatch_ptr 0
		.amdhsa_user_sgpr_queue_ptr 0
		.amdhsa_user_sgpr_kernarg_segment_ptr 1
		.amdhsa_user_sgpr_dispatch_id 0
		.amdhsa_user_sgpr_kernarg_preload_length 0
		.amdhsa_user_sgpr_kernarg_preload_offset 0
		.amdhsa_user_sgpr_private_segment_size 0
		.amdhsa_uses_dynamic_stack 0
		.amdhsa_enable_private_segment 0
		.amdhsa_system_sgpr_workgroup_id_x 1
		.amdhsa_system_sgpr_workgroup_id_y 1
		.amdhsa_system_sgpr_workgroup_id_z 1
		.amdhsa_system_sgpr_workgroup_info 0
		.amdhsa_system_vgpr_workitem_id 0
		.amdhsa_next_free_vgpr 62
		.amdhsa_next_free_sgpr 28
		.amdhsa_accum_offset 64
		.amdhsa_reserve_vcc 1
		.amdhsa_float_round_mode_32 0
		.amdhsa_float_round_mode_16_64 0
		.amdhsa_float_denorm_mode_32 3
		.amdhsa_float_denorm_mode_16_64 3
		.amdhsa_dx10_clamp 1
		.amdhsa_ieee_mode 1
		.amdhsa_fp16_overflow 0
		.amdhsa_tg_split 0
		.amdhsa_exception_fp_ieee_invalid_op 0
		.amdhsa_exception_fp_denorm_src 0
		.amdhsa_exception_fp_ieee_div_zero 0
		.amdhsa_exception_fp_ieee_overflow 0
		.amdhsa_exception_fp_ieee_underflow 0
		.amdhsa_exception_fp_ieee_inexact 0
		.amdhsa_exception_int_div_zero 0
	.end_amdhsa_kernel
	.section	.text._ZN4vllm4gptq33gemm_half_q_half_gptq_4bit_kernelILb1ELi2EEEvPK6__halfPKjS6_S4_PS2_iiiibPKi,"axG",@progbits,_ZN4vllm4gptq33gemm_half_q_half_gptq_4bit_kernelILb1ELi2EEEvPK6__halfPKjS6_S4_PS2_iiiibPKi,comdat
.Lfunc_end21:
	.size	_ZN4vllm4gptq33gemm_half_q_half_gptq_4bit_kernelILb1ELi2EEEvPK6__halfPKjS6_S4_PS2_iiiibPKi, .Lfunc_end21-_ZN4vllm4gptq33gemm_half_q_half_gptq_4bit_kernelILb1ELi2EEEvPK6__halfPKjS6_S4_PS2_iiiibPKi
                                        ; -- End function
	.set _ZN4vllm4gptq33gemm_half_q_half_gptq_4bit_kernelILb1ELi2EEEvPK6__halfPKjS6_S4_PS2_iiiibPKi.num_vgpr, 62
	.set _ZN4vllm4gptq33gemm_half_q_half_gptq_4bit_kernelILb1ELi2EEEvPK6__halfPKjS6_S4_PS2_iiiibPKi.num_agpr, 0
	.set _ZN4vllm4gptq33gemm_half_q_half_gptq_4bit_kernelILb1ELi2EEEvPK6__halfPKjS6_S4_PS2_iiiibPKi.numbered_sgpr, 28
	.set _ZN4vllm4gptq33gemm_half_q_half_gptq_4bit_kernelILb1ELi2EEEvPK6__halfPKjS6_S4_PS2_iiiibPKi.num_named_barrier, 0
	.set _ZN4vllm4gptq33gemm_half_q_half_gptq_4bit_kernelILb1ELi2EEEvPK6__halfPKjS6_S4_PS2_iiiibPKi.private_seg_size, 0
	.set _ZN4vllm4gptq33gemm_half_q_half_gptq_4bit_kernelILb1ELi2EEEvPK6__halfPKjS6_S4_PS2_iiiibPKi.uses_vcc, 1
	.set _ZN4vllm4gptq33gemm_half_q_half_gptq_4bit_kernelILb1ELi2EEEvPK6__halfPKjS6_S4_PS2_iiiibPKi.uses_flat_scratch, 0
	.set _ZN4vllm4gptq33gemm_half_q_half_gptq_4bit_kernelILb1ELi2EEEvPK6__halfPKjS6_S4_PS2_iiiibPKi.has_dyn_sized_stack, 0
	.set _ZN4vllm4gptq33gemm_half_q_half_gptq_4bit_kernelILb1ELi2EEEvPK6__halfPKjS6_S4_PS2_iiiibPKi.has_recursion, 0
	.set _ZN4vllm4gptq33gemm_half_q_half_gptq_4bit_kernelILb1ELi2EEEvPK6__halfPKjS6_S4_PS2_iiiibPKi.has_indirect_call, 0
	.section	.AMDGPU.csdata,"",@progbits
; Kernel info:
; codeLenInByte = 5356
; TotalNumSgprs: 34
; NumVgprs: 62
; NumAgprs: 0
; TotalNumVgprs: 62
; ScratchSize: 0
; MemoryBound: 0
; FloatMode: 240
; IeeeMode: 1
; LDSByteSize: 512 bytes/workgroup (compile time only)
; SGPRBlocks: 4
; VGPRBlocks: 7
; NumSGPRsForWavesPerEU: 34
; NumVGPRsForWavesPerEU: 62
; AccumOffset: 64
; Occupancy: 8
; WaveLimiterHint : 0
; COMPUTE_PGM_RSRC2:SCRATCH_EN: 0
; COMPUTE_PGM_RSRC2:USER_SGPR: 2
; COMPUTE_PGM_RSRC2:TRAP_HANDLER: 0
; COMPUTE_PGM_RSRC2:TGID_X_EN: 1
; COMPUTE_PGM_RSRC2:TGID_Y_EN: 1
; COMPUTE_PGM_RSRC2:TGID_Z_EN: 1
; COMPUTE_PGM_RSRC2:TIDIG_COMP_CNT: 0
; COMPUTE_PGM_RSRC3_GFX90A:ACCUM_OFFSET: 15
; COMPUTE_PGM_RSRC3_GFX90A:TG_SPLIT: 0
	.section	.text._ZN4vllm4gptq33gemm_half_q_half_gptq_8bit_kernelILb1ELi2EEEvPK6__halfPKjS6_S4_PS2_iiiibPKi,"axG",@progbits,_ZN4vllm4gptq33gemm_half_q_half_gptq_8bit_kernelILb1ELi2EEEvPK6__halfPKjS6_S4_PS2_iiiibPKi,comdat
	.protected	_ZN4vllm4gptq33gemm_half_q_half_gptq_8bit_kernelILb1ELi2EEEvPK6__halfPKjS6_S4_PS2_iiiibPKi ; -- Begin function _ZN4vllm4gptq33gemm_half_q_half_gptq_8bit_kernelILb1ELi2EEEvPK6__halfPKjS6_S4_PS2_iiiibPKi
	.globl	_ZN4vllm4gptq33gemm_half_q_half_gptq_8bit_kernelILb1ELi2EEEvPK6__halfPKjS6_S4_PS2_iiiibPKi
	.p2align	8
	.type	_ZN4vllm4gptq33gemm_half_q_half_gptq_8bit_kernelILb1ELi2EEEvPK6__halfPKjS6_S4_PS2_iiiibPKi,@function
_ZN4vllm4gptq33gemm_half_q_half_gptq_8bit_kernelILb1ELi2EEEvPK6__halfPKjS6_S4_PS2_iiiibPKi: ; @_ZN4vllm4gptq33gemm_half_q_half_gptq_8bit_kernelILb1ELi2EEEvPK6__halfPKjS6_S4_PS2_iiiibPKi
; %bb.0:
	s_load_dwordx8 s[8:15], s[0:1], 0x8
	s_load_dwordx4 s[16:19], s[0:1], 0x2c
	s_lshl_b32 s23, s4, 7
	s_lshl_b32 s22, s3, 1
	s_add_i32 s3, s23, 0x80
	v_cvt_f64_u32_e32 v[2:3], s3
	s_waitcnt lgkmcnt(0)
	v_cvt_f64_i32_e32 v[4:5], s17
	v_min_f64 v[2:3], v[2:3], v[4:5]
	v_cvt_i32_f64_e32 v1, v[2:3]
	v_add_u32_e32 v2, s23, v0
	v_readfirstlane_b32 s24, v1
	v_cmp_lt_u32_e32 vcc, v2, v1
	s_and_saveexec_b64 s[4:5], vcc
	s_cbranch_execz .LBB22_6
; %bb.1:
	s_load_dwordx2 s[20:21], s[0:1], 0x40
	s_load_dwordx2 s[6:7], s[0:1], 0x0
	v_mov_b32_e32 v3, 0
	v_mov_b64_e32 v[6:7], v[2:3]
	s_waitcnt lgkmcnt(0)
	s_cmp_lg_u64 s[20:21], 0
	s_cselect_b64 s[0:1], -1, 0
	s_cmp_eq_u64 s[20:21], 0
	v_lshl_add_u64 v[4:5], v[2:3], 2, s[20:21]
	s_cbranch_scc1 .LBB22_3
; %bb.2:
	global_load_dword v6, v[4:5], off
	s_waitcnt vmcnt(0)
	v_ashrrev_i32_e32 v7, 31, v6
.LBB22_3:
	s_mul_i32 s20, s22, s17
	s_ashr_i32 s21, s20, 31
	s_lshl_b64 s[26:27], s[20:21], 1
	s_add_u32 s26, s6, s26
	s_addc_u32 s27, s7, s27
	v_lshl_add_u64 v[6:7], v[6:7], 1, s[26:27]
	global_load_ushort v6, v[6:7], off
	v_lshlrev_b32_e32 v1, 1, v0
	s_andn2_b64 vcc, exec, s[0:1]
	s_waitcnt vmcnt(0)
	ds_write_b16 v1, v6
	s_cbranch_vccnz .LBB22_5
; %bb.4:
	global_load_dword v2, v[4:5], off
	s_waitcnt vmcnt(0)
	v_ashrrev_i32_e32 v3, 31, v2
.LBB22_5:
	s_add_i32 s0, s20, s17
	s_ashr_i32 s1, s0, 31
	s_lshl_b64 s[0:1], s[0:1], 1
	s_add_u32 s0, s6, s0
	s_addc_u32 s1, s7, s1
	v_lshl_add_u64 v[2:3], v[2:3], 1, s[0:1]
	global_load_ushort v2, v[2:3], off
	s_waitcnt vmcnt(0)
	ds_write_b16 v1, v2 offset:256
.LBB22_6:
	s_or_b64 exec, exec, s[4:5]
	v_lshlrev_b32_e32 v0, 2, v0
	v_lshl_add_u32 v12, s2, 9, v0
	v_cmp_gt_i32_e32 vcc, s16, v12
	s_and_saveexec_b64 s[0:1], vcc
	s_cbranch_execz .LBB22_20
; %bb.7:
	s_abs_i32 s0, s18
	v_cvt_f32_u32_e32 v0, s0
	s_mov_b32 s4, 0
	v_mov_b32_e32 v8, 0
	v_mov_b32_e32 v32, 0
	v_rcp_iflag_f32_e32 v0, v0
	v_mov_b32_e32 v31, 0
	s_cmp_ge_i32 s23, s24
	v_mov_b32_e32 v30, 0
	v_mul_f32_e32 v0, 0x4f7ffffe, v0
	v_cvt_u32_f32_e32 v0, v0
	s_waitcnt lgkmcnt(0)
	s_barrier
	v_readfirstlane_b32 s1, v0
	s_cbranch_scc1 .LBB22_12
; %bb.8:
	s_sub_i32 s6, 0, s0
	s_mul_i32 s6, s6, s1
	s_mul_hi_u32 s6, s1, s6
	s_abs_i32 s5, s17
	s_add_i32 s1, s1, s6
	s_ashr_i32 s2, s17, 31
	s_ashr_i32 s3, s18, 31
	s_mul_hi_u32 s1, s5, s1
	s_xor_b32 s2, s2, s3
	s_mul_i32 s3, s1, s0
	s_sub_i32 s3, s5, s3
	s_add_i32 s5, s1, 1
	s_sub_i32 s6, s3, s0
	s_cmp_ge_u32 s3, s0
	s_cselect_b32 s1, s5, s1
	s_cselect_b32 s3, s6, s3
	s_add_i32 s5, s1, 1
	s_cmp_ge_u32 s3, s0
	s_cselect_b32 s0, s5, s1
	s_xor_b32 s0, s0, s2
	s_sub_i32 s5, s0, s2
	v_cvt_f32_u32_e32 v0, s5
	s_bitcmp1_b32 s19, 0
	s_cselect_b64 s[0:1], -1, 0
	s_sub_i32 s2, 0, s5
	v_rcp_iflag_f32_e32 v0, v0
	s_xor_b64 s[0:1], s[0:1], -1
	v_ashrrev_i32_e32 v20, 2, v12
	v_cndmask_b32_e64 v21, 0, 1, s[0:1]
	v_mul_f32_e32 v0, 0x4f7ffffe, v0
	v_cvt_u32_f32_e32 v0, v0
	v_ashrrev_i32_e32 v13, 31, v12
	v_mov_b32_e32 v30, 0
	v_mov_b32_e32 v31, 0
	v_readfirstlane_b32 s3, v0
	s_mul_i32 s2, s2, s3
	s_mul_hi_u32 s2, s3, s2
	s_add_i32 s3, s3, s2
	s_mul_hi_u32 s2, s23, s3
	s_mul_i32 s3, s2, s5
	s_sub_i32 s3, s23, s3
	s_add_i32 s6, s2, 1
	s_sub_i32 s7, s3, s5
	s_cmp_ge_u32 s3, s5
	s_cselect_b32 s2, s6, s2
	s_cselect_b32 s3, s7, s3
	s_add_i32 s6, s2, 1
	s_cmp_ge_u32 s3, s5
	s_cselect_b32 s6, s6, s2
	s_mul_i32 s2, s6, s16
	s_ashr_i32 s3, s2, 31
	s_lshr_b32 s3, s3, 30
	s_add_i32 s3, s2, s3
	s_ashr_i32 s3, s3, 2
	v_add_u32_e32 v0, s3, v20
	v_ashrrev_i32_e32 v1, 31, v0
	v_lshl_add_u64 v[0:1], v[0:1], 2, s[10:11]
	global_load_dword v2, v[0:1], off
	v_add_u32_e32 v0, s2, v12
	v_ashrrev_i32_e32 v1, 31, v0
	v_lshl_add_u64 v[0:1], v[0:1], 1, s[12:13]
	global_load_dwordx2 v[14:15], v[0:1], off
	s_lshr_b32 s0, s23, 2
	s_mul_i32 s0, s16, s0
	s_ashr_i32 s1, s0, 31
	s_lshl_b64 s[0:1], s[0:1], 2
	s_add_u32 s0, s8, s0
	s_addc_u32 s1, s9, s1
	s_ashr_i32 s17, s16, 31
	v_mov_b32_e32 v32, 0
	s_add_i32 s7, s5, s23
	v_lshl_add_u64 v[16:17], v[12:13], 2, s[0:1]
	s_lshl_b64 s[0:1], s[16:17], 5
	s_lshl_b64 s[2:3], s[16:17], 2
	v_mov_b32_e32 v8, 0
	s_waitcnt vmcnt(1)
	v_and_b32_e32 v13, 0xff, v2
	v_bfe_u32 v22, v2, 8, 8
	v_bfe_u32 v23, v2, 16, 8
	v_lshrrev_b32_e32 v24, 24, v2
	s_branch .LBB22_10
.LBB22_9:                               ;   in Loop: Header=BB22_10 Depth=1
	global_load_dwordx4 v[4:7], v[16:17], off
	v_lshl_add_u64 v[18:19], v[16:17], 0, s[2:3]
	global_load_dwordx4 v[0:3], v[18:19], off
	v_lshl_add_u64 v[18:19], v[18:19], 0, s[2:3]
	;; [unrolled: 2-line block ×3, first 2 shown]
	global_load_dwordx4 v[72:75], v[18:19], off
	v_add_u32_e32 v27, v22, v21
	v_add_u32_e32 v26, v23, v21
	v_add_u32_e32 v28, v13, v21
	v_add_u32_e32 v25, v24, v21
	s_add_i32 s23, s23, 32
	v_lshl_add_u64 v[16:17], v[16:17], 0, s[0:1]
	s_waitcnt vmcnt(3)
	v_sub_u32_sdwa v29, v5, v27 dst_sel:DWORD dst_unused:UNUSED_PAD src0_sel:BYTE_0 src1_sel:DWORD
	v_sub_u32_sdwa v37, v6, v26 dst_sel:DWORD dst_unused:UNUSED_PAD src0_sel:BYTE_2 src1_sel:DWORD
	v_sub_u32_sdwa v9, v4, v28 dst_sel:DWORD dst_unused:UNUSED_PAD src0_sel:BYTE_0 src1_sel:DWORD
	v_sub_u32_sdwa v10, v4, v28 dst_sel:DWORD dst_unused:UNUSED_PAD src0_sel:BYTE_1 src1_sel:DWORD
	v_sub_u32_sdwa v11, v4, v28 dst_sel:DWORD dst_unused:UNUSED_PAD src0_sel:BYTE_2 src1_sel:DWORD
	v_sub_u32_sdwa v4, v4, v28 dst_sel:DWORD dst_unused:UNUSED_PAD src0_sel:BYTE_3 src1_sel:DWORD
	v_sub_u32_sdwa v33, v5, v27 dst_sel:DWORD dst_unused:UNUSED_PAD src0_sel:BYTE_1 src1_sel:DWORD
	v_sub_u32_sdwa v34, v5, v27 dst_sel:DWORD dst_unused:UNUSED_PAD src0_sel:BYTE_2 src1_sel:DWORD
	v_sub_u32_sdwa v5, v5, v27 dst_sel:DWORD dst_unused:UNUSED_PAD src0_sel:BYTE_3 src1_sel:DWORD
	v_sub_u32_sdwa v35, v6, v26 dst_sel:DWORD dst_unused:UNUSED_PAD src0_sel:BYTE_0 src1_sel:DWORD
	v_sub_u32_sdwa v36, v6, v26 dst_sel:DWORD dst_unused:UNUSED_PAD src0_sel:BYTE_1 src1_sel:DWORD
	v_sub_u32_sdwa v6, v6, v26 dst_sel:DWORD dst_unused:UNUSED_PAD src0_sel:BYTE_3 src1_sel:DWORD
	v_sub_u32_sdwa v38, v7, v25 dst_sel:DWORD dst_unused:UNUSED_PAD src0_sel:BYTE_0 src1_sel:DWORD
	v_sub_u32_sdwa v39, v7, v25 dst_sel:DWORD dst_unused:UNUSED_PAD src0_sel:BYTE_1 src1_sel:DWORD
	v_sub_u32_sdwa v40, v7, v25 dst_sel:DWORD dst_unused:UNUSED_PAD src0_sel:BYTE_2 src1_sel:DWORD
	v_sub_u32_sdwa v7, v7, v25 dst_sel:DWORD dst_unused:UNUSED_PAD src0_sel:BYTE_3 src1_sel:DWORD
	s_waitcnt vmcnt(2)
	v_sub_u32_sdwa v41, v0, v28 dst_sel:DWORD dst_unused:UNUSED_PAD src0_sel:BYTE_0 src1_sel:DWORD
	v_sub_u32_sdwa v42, v0, v28 dst_sel:DWORD dst_unused:UNUSED_PAD src0_sel:BYTE_1 src1_sel:DWORD
	v_sub_u32_sdwa v43, v0, v28 dst_sel:DWORD dst_unused:UNUSED_PAD src0_sel:BYTE_2 src1_sel:DWORD
	v_sub_u32_sdwa v0, v0, v28 dst_sel:DWORD dst_unused:UNUSED_PAD src0_sel:BYTE_3 src1_sel:DWORD
	v_cvt_f32_i32_e32 v29, v29
	v_sub_u32_sdwa v44, v1, v27 dst_sel:DWORD dst_unused:UNUSED_PAD src0_sel:BYTE_0 src1_sel:DWORD
	v_sub_u32_sdwa v45, v1, v27 dst_sel:DWORD dst_unused:UNUSED_PAD src0_sel:BYTE_1 src1_sel:DWORD
	v_sub_u32_sdwa v46, v1, v27 dst_sel:DWORD dst_unused:UNUSED_PAD src0_sel:BYTE_2 src1_sel:DWORD
	v_sub_u32_sdwa v1, v1, v27 dst_sel:DWORD dst_unused:UNUSED_PAD src0_sel:BYTE_3 src1_sel:DWORD
	v_cvt_f32_i32_e32 v47, v37
	;; [unrolled: 5-line block ×3, first 2 shown]
	v_cvt_f32_i32_e32 v34, v34
	v_cvt_f32_i32_e32 v5, v5
	;; [unrolled: 1-line block ×15, first 2 shown]
	v_cvt_f16_f32_e32 v37, v29
	v_mov_b32_e32 v29, s4
	v_cvt_f32_i32_e32 v62, v39
	v_cvt_f32_i32_e32 v63, v40
	;; [unrolled: 1-line block ×3, first 2 shown]
	v_cvt_f16_f32_e32 v56, v4
	v_cvt_f16_f32_e32 v39, v34
	;; [unrolled: 1-line block ×12, first 2 shown]
	v_sub_u32_sdwa v0, v3, v25 dst_sel:DWORD dst_unused:UNUSED_PAD src0_sel:BYTE_0 src1_sel:DWORD
	v_sub_u32_sdwa v1, v3, v25 dst_sel:DWORD dst_unused:UNUSED_PAD src0_sel:BYTE_1 src1_sel:DWORD
	v_sub_u32_sdwa v2, v3, v25 dst_sel:DWORD dst_unused:UNUSED_PAD src0_sel:BYTE_2 src1_sel:DWORD
	v_sub_u32_sdwa v3, v3, v25 dst_sel:DWORD dst_unused:UNUSED_PAD src0_sel:BYTE_3 src1_sel:DWORD
	ds_read_b128 v[4:7], v29
	v_cvt_f32_i32_e32 v33, v33
	v_cvt_f32_i32_e32 v35, v35
	;; [unrolled: 1-line block ×6, first 2 shown]
	v_cvt_f16_f32_e32 v53, v9
	v_cvt_f32_i32_e32 v0, v0
	v_cvt_f32_i32_e32 v1, v1
	;; [unrolled: 1-line block ×4, first 2 shown]
	v_cvt_f16_f32_e32 v54, v10
	v_cvt_f32_i32_e32 v43, v43
	v_cvt_f16_f32_e32 v55, v11
	v_cvt_f16_f32_e32 v38, v33
	v_cvt_f16_f32_e32 v33, v35
	v_cvt_f16_f32_e32 v35, v47
	v_cvt_f16_f32_e32 v59, v41
	v_cvt_f16_f32_e32 v50, v45
	v_cvt_f16_f32_e32 v51, v46
	v_cvt_f16_f32_e32 v41, v64
	v_cvt_f16_f32_e32 v45, v61
	v_cvt_f16_f32_e32 v46, v62
	v_cvt_f16_f32_e32 v47, v63
	v_cvt_f16_f32_e32 v61, v0
	v_cvt_f16_f32_e32 v62, v1
	v_cvt_f16_f32_e32 v63, v2
	v_cvt_f16_f32_e32 v64, v3
	ds_read_b128 v[0:3], v29 offset:16
	s_waitcnt lgkmcnt(1)
	v_fma_mix_f32 v9, v53, v4, 0 op_sel_hi:[1,1,0]
	v_cvt_f16_f32_e32 v58, v43
	v_fma_mix_f32 v9, v54, v4, v9 op_sel:[0,1,0] op_sel_hi:[1,1,0]
	v_cvt_f16_f32_e32 v43, v65
	v_fma_mix_f32 v9, v55, v5, v9 op_sel_hi:[1,1,0]
	s_add_i32 s4, s4, 64
	v_fma_mix_f32 v9, v56, v5, v9 op_sel:[0,1,0] op_sel_hi:[1,1,0]
	s_cmp_ge_i32 s23, s24
	v_fma_mix_f32 v9, v59, v6, v9 op_sel_hi:[1,1,0]
	s_nop 0
	v_fma_mix_f32 v9, v60, v6, v9 op_sel:[0,1,0] op_sel_hi:[1,1,0]
	s_nop 0
	v_fma_mix_f32 v9, v58, v7, v9 op_sel_hi:[1,1,0]
	s_nop 0
	v_fma_mix_f32 v9, v57, v7, v9 op_sel:[0,1,0] op_sel_hi:[1,1,0]
	s_nop 0
	v_fma_mixlo_f16 v9, v9, v14, 0 op_sel_hi:[0,1,0]
	v_add_f16_e32 v65, v8, v9
	v_fma_mix_f32 v9, v37, v4, 0 op_sel_hi:[1,1,0]
	s_nop 0
	v_fma_mix_f32 v9, v38, v4, v9 op_sel:[0,1,0] op_sel_hi:[1,1,0]
	s_nop 0
	v_fma_mix_f32 v9, v39, v5, v9 op_sel_hi:[1,1,0]
	s_nop 0
	v_fma_mix_f32 v9, v40, v5, v9 op_sel:[0,1,0] op_sel_hi:[1,1,0]
	s_nop 0
	;; [unrolled: 4-line block ×4, first 2 shown]
	v_fma_mixlo_f16 v9, v9, v14, 0 op_sel:[0,1,0] op_sel_hi:[0,1,0]
	v_add_f16_sdwa v66, v8, v9 dst_sel:DWORD dst_unused:UNUSED_PAD src0_sel:WORD_1 src1_sel:DWORD
	v_fma_mix_f32 v8, v33, v4, 0 op_sel_hi:[1,1,0]
	s_nop 0
	v_fma_mix_f32 v8, v34, v4, v8 op_sel:[0,1,0] op_sel_hi:[1,1,0]
	s_nop 0
	v_fma_mix_f32 v8, v35, v5, v8 op_sel_hi:[1,1,0]
	s_nop 0
	v_fma_mix_f32 v8, v36, v5, v8 op_sel:[0,1,0] op_sel_hi:[1,1,0]
	s_nop 0
	;; [unrolled: 4-line block ×3, first 2 shown]
	v_fma_mix_f32 v8, v43, v7, v8 op_sel_hi:[1,1,0]
	s_nop 0
	v_fma_mix_f32 v67, v44, v7, v8 op_sel:[0,1,0] op_sel_hi:[1,1,0]
	v_fma_mix_f32 v8, v45, v4, 0 op_sel_hi:[1,1,0]
	s_nop 0
	v_fma_mix_f32 v4, v46, v4, v8 op_sel:[0,1,0] op_sel_hi:[1,1,0]
	ds_read_b128 v[8:11], v29 offset:256
	v_fma_mix_f32 v4, v47, v5, v4 op_sel_hi:[1,1,0]
	s_nop 0
	v_fma_mix_f32 v4, v48, v5, v4 op_sel:[0,1,0] op_sel_hi:[1,1,0]
	v_fma_mixlo_f16 v5, v67, v15, 0 op_sel_hi:[0,1,0]
	v_fma_mix_f32 v4, v61, v6, v4 op_sel_hi:[1,1,0]
	v_add_f16_e32 v67, v32, v5
	v_fma_mix_f32 v4, v62, v6, v4 op_sel:[0,1,0] op_sel_hi:[1,1,0]
	s_nop 0
	v_fma_mix_f32 v4, v63, v7, v4 op_sel_hi:[1,1,0]
	s_nop 0
	v_fma_mix_f32 v4, v64, v7, v4 op_sel:[0,1,0] op_sel_hi:[1,1,0]
	s_nop 0
	v_fma_mixlo_f16 v4, v4, v15, 0 op_sel:[0,1,0] op_sel_hi:[0,1,0]
	v_add_f16_sdwa v32, v32, v4 dst_sel:DWORD dst_unused:UNUSED_PAD src0_sel:WORD_1 src1_sel:DWORD
	ds_read_b128 v[4:7], v29 offset:272
	s_waitcnt lgkmcnt(1)
	v_fma_mix_f32 v33, v33, v8, 0 op_sel_hi:[1,1,0]
	v_fma_mix_f32 v53, v53, v8, 0 op_sel_hi:[1,1,0]
	;; [unrolled: 1-line block ×3, first 2 shown]
	v_fma_mix_f32 v33, v34, v8, v33 op_sel:[0,1,0] op_sel_hi:[1,1,0]
	v_fma_mix_f32 v34, v45, v8, 0 op_sel_hi:[1,1,0]
	v_fma_mix_f32 v53, v54, v8, v53 op_sel:[0,1,0] op_sel_hi:[1,1,0]
	v_fma_mix_f32 v37, v38, v8, v37 op_sel:[0,1,0] op_sel_hi:[1,1,0]
	;; [unrolled: 1-line block ×3, first 2 shown]
	v_fma_mix_f32 v53, v55, v9, v53 op_sel_hi:[1,1,0]
	v_fma_mix_f32 v8, v47, v9, v8 op_sel_hi:[1,1,0]
	;; [unrolled: 1-line block ×3, first 2 shown]
	v_fma_mix_f32 v8, v48, v9, v8 op_sel:[0,1,0] op_sel_hi:[1,1,0]
	v_fma_mix_f32 v33, v35, v9, v33 op_sel_hi:[1,1,0]
	v_fma_mix_f32 v8, v61, v10, v8 op_sel_hi:[1,1,0]
	v_fma_mix_f32 v53, v56, v9, v53 op_sel:[0,1,0] op_sel_hi:[1,1,0]
	v_fma_mix_f32 v8, v62, v10, v8 op_sel:[0,1,0] op_sel_hi:[1,1,0]
	;; [unrolled: 1-line block ×3, first 2 shown]
	v_fma_mix_f32 v8, v63, v11, v8 op_sel_hi:[1,1,0]
	v_fma_mix_f32 v33, v36, v9, v33 op_sel:[0,1,0] op_sel_hi:[1,1,0]
	v_fma_mix_f32 v8, v64, v11, v8 op_sel:[0,1,0] op_sel_hi:[1,1,0]
	v_fma_mix_f32 v53, v59, v10, v53 op_sel_hi:[1,1,0]
	v_fma_mix_f32 v37, v49, v10, v37 op_sel_hi:[1,1,0]
	;; [unrolled: 1-line block ×3, first 2 shown]
	s_waitcnt vmcnt(1)
	v_sub_u32_sdwa v9, v68, v28 dst_sel:DWORD dst_unused:UNUSED_PAD src0_sel:BYTE_0 src1_sel:DWORD
	v_fma_mixlo_f16 v8, v8, v15, 0 op_sel:[0,1,0] op_sel_hi:[0,1,0]
	v_fma_mix_f32 v53, v60, v10, v53 op_sel:[0,1,0] op_sel_hi:[1,1,0]
	v_fma_mix_f32 v37, v50, v10, v37 op_sel:[0,1,0] op_sel_hi:[1,1,0]
	;; [unrolled: 1-line block ×3, first 2 shown]
	v_add_f16_sdwa v36, v30, v8 dst_sel:DWORD dst_unused:UNUSED_PAD src0_sel:WORD_1 src1_sel:DWORD
	v_cvt_f32_i32_e32 v8, v9
	v_fma_mix_f32 v53, v58, v11, v53 op_sel_hi:[1,1,0]
	v_fma_mix_f32 v37, v51, v11, v37 op_sel_hi:[1,1,0]
	;; [unrolled: 1-line block ×3, first 2 shown]
	v_fma_mix_f32 v53, v57, v11, v53 op_sel:[0,1,0] op_sel_hi:[1,1,0]
	v_fma_mix_f32 v37, v52, v11, v37 op_sel:[0,1,0] op_sel_hi:[1,1,0]
	;; [unrolled: 1-line block ×3, first 2 shown]
	v_fma_mixlo_f16 v53, v53, v14, 0 op_sel_hi:[0,1,0]
	v_fma_mixlo_f16 v37, v37, v14, 0 op_sel:[0,1,0] op_sel_hi:[0,1,0]
	v_sub_u32_sdwa v10, v68, v28 dst_sel:DWORD dst_unused:UNUSED_PAD src0_sel:BYTE_1 src1_sel:DWORD
	s_waitcnt vmcnt(0)
	v_sub_u32_sdwa v35, v72, v28 dst_sel:DWORD dst_unused:UNUSED_PAD src0_sel:BYTE_0 src1_sel:DWORD
	v_fma_mixlo_f16 v33, v33, v15, 0 op_sel_hi:[0,1,0]
	v_add_f16_e32 v53, v31, v53
	v_add_f16_sdwa v31, v31, v37 dst_sel:DWORD dst_unused:UNUSED_PAD src0_sel:WORD_1 src1_sel:DWORD
	v_add_f16_e32 v37, v30, v33
	v_cvt_f32_i32_e32 v9, v10
	v_cvt_f16_f32_e32 v30, v8
	v_cvt_f32_i32_e32 v8, v35
	v_sub_u32_sdwa v41, v72, v28 dst_sel:DWORD dst_unused:UNUSED_PAD src0_sel:BYTE_1 src1_sel:DWORD
	v_sub_u32_sdwa v45, v69, v27 dst_sel:DWORD dst_unused:UNUSED_PAD src0_sel:BYTE_0 src1_sel:DWORD
	v_cvt_f16_f32_e32 v38, v9
	v_cvt_f32_i32_e32 v9, v41
	v_cvt_f16_f32_e32 v41, v8
	v_cvt_f32_i32_e32 v8, v45
	v_sub_u32_sdwa v49, v73, v27 dst_sel:DWORD dst_unused:UNUSED_PAD src0_sel:BYTE_0 src1_sel:DWORD
	v_sub_u32_sdwa v54, v70, v26 dst_sel:DWORD dst_unused:UNUSED_PAD src0_sel:BYTE_0 src1_sel:DWORD
	;; [unrolled: 1-line block ×3, first 2 shown]
	v_cvt_f16_f32_e32 v45, v8
	v_cvt_f32_i32_e32 v8, v49
	v_sub_u32_sdwa v62, v71, v25 dst_sel:DWORD dst_unused:UNUSED_PAD src0_sel:BYTE_0 src1_sel:DWORD
	v_sub_u32_sdwa v11, v68, v28 dst_sel:DWORD dst_unused:UNUSED_PAD src0_sel:BYTE_2 src1_sel:DWORD
	v_sub_u32_sdwa v34, v68, v28 dst_sel:DWORD dst_unused:UNUSED_PAD src0_sel:BYTE_3 src1_sel:DWORD
	v_cvt_f16_f32_e32 v49, v8
	v_cvt_f32_i32_e32 v8, v54
	v_cvt_f32_i32_e32 v10, v11
	v_sub_u32_sdwa v46, v69, v27 dst_sel:DWORD dst_unused:UNUSED_PAD src0_sel:BYTE_1 src1_sel:DWORD
	v_sub_u32_sdwa v47, v69, v27 dst_sel:DWORD dst_unused:UNUSED_PAD src0_sel:BYTE_2 src1_sel:DWORD
	v_cvt_f16_f32_e32 v54, v8
	v_cvt_f32_i32_e32 v8, v58
	v_sub_u32_sdwa v48, v69, v27 dst_sel:DWORD dst_unused:UNUSED_PAD src0_sel:BYTE_3 src1_sel:DWORD
	v_sub_u32_sdwa v69, v75, v25 dst_sel:DWORD dst_unused:UNUSED_PAD src0_sel:BYTE_0 src1_sel:DWORD
	v_cvt_f32_i32_e32 v11, v34
	v_cvt_f16_f32_e32 v58, v8
	v_cvt_f32_i32_e32 v8, v62
	v_sub_u32_sdwa v42, v72, v28 dst_sel:DWORD dst_unused:UNUSED_PAD src0_sel:BYTE_2 src1_sel:DWORD
	v_sub_u32_sdwa v43, v72, v28 dst_sel:DWORD dst_unused:UNUSED_PAD src0_sel:BYTE_3 src1_sel:DWORD
	v_cvt_f16_f32_e32 v39, v10
	v_cvt_f16_f32_e32 v62, v8
	v_cvt_f32_i32_e32 v8, v69
	v_cvt_f32_i32_e32 v10, v42
	v_cvt_f16_f32_e32 v40, v11
	v_cvt_f32_i32_e32 v11, v43
	v_cvt_f16_f32_e32 v69, v8
	v_fma_mix_f32 v8, v30, v0, 0 op_sel_hi:[1,1,0]
	v_cvt_f16_f32_e32 v42, v9
	v_fma_mix_f32 v8, v38, v0, v8 op_sel:[0,1,0] op_sel_hi:[1,1,0]
	v_cvt_f16_f32_e32 v43, v10
	v_cvt_f32_i32_e32 v9, v46
	v_fma_mix_f32 v8, v39, v1, v8 op_sel_hi:[1,1,0]
	v_cvt_f16_f32_e32 v44, v11
	v_cvt_f32_i32_e32 v10, v47
	v_fma_mix_f32 v8, v40, v1, v8 op_sel:[0,1,0] op_sel_hi:[1,1,0]
	v_cvt_f32_i32_e32 v11, v48
	v_fma_mix_f32 v8, v41, v2, v8 op_sel_hi:[1,1,0]
	v_sub_u32_sdwa v50, v73, v27 dst_sel:DWORD dst_unused:UNUSED_PAD src0_sel:BYTE_1 src1_sel:DWORD
	v_fma_mix_f32 v8, v42, v2, v8 op_sel:[0,1,0] op_sel_hi:[1,1,0]
	v_sub_u32_sdwa v51, v73, v27 dst_sel:DWORD dst_unused:UNUSED_PAD src0_sel:BYTE_2 src1_sel:DWORD
	v_cvt_f16_f32_e32 v46, v9
	v_cvt_f32_i32_e32 v9, v50
	v_fma_mix_f32 v8, v43, v3, v8 op_sel_hi:[1,1,0]
	v_sub_u32_sdwa v52, v73, v27 dst_sel:DWORD dst_unused:UNUSED_PAD src0_sel:BYTE_3 src1_sel:DWORD
	v_cvt_f16_f32_e32 v47, v10
	v_cvt_f32_i32_e32 v10, v51
	v_fma_mix_f32 v8, v44, v3, v8 op_sel:[0,1,0] op_sel_hi:[1,1,0]
	v_cvt_f16_f32_e32 v48, v11
	v_cvt_f32_i32_e32 v11, v52
	v_fma_mixlo_f16 v8, v8, v14, 0 op_sel_hi:[0,1,0]
	v_add_f16_e32 v34, v65, v8
	v_fma_mix_f32 v8, v45, v0, 0 op_sel_hi:[1,1,0]
	v_sub_u32_sdwa v55, v70, v26 dst_sel:DWORD dst_unused:UNUSED_PAD src0_sel:BYTE_1 src1_sel:DWORD
	v_cvt_f16_f32_e32 v50, v9
	v_fma_mix_f32 v8, v46, v0, v8 op_sel:[0,1,0] op_sel_hi:[1,1,0]
	v_sub_u32_sdwa v56, v70, v26 dst_sel:DWORD dst_unused:UNUSED_PAD src0_sel:BYTE_2 src1_sel:DWORD
	v_cvt_f16_f32_e32 v51, v10
	v_cvt_f32_i32_e32 v9, v55
	v_fma_mix_f32 v8, v47, v1, v8 op_sel_hi:[1,1,0]
	v_sub_u32_sdwa v57, v70, v26 dst_sel:DWORD dst_unused:UNUSED_PAD src0_sel:BYTE_3 src1_sel:DWORD
	v_cvt_f16_f32_e32 v52, v11
	v_cvt_f32_i32_e32 v10, v56
	v_fma_mix_f32 v8, v48, v1, v8 op_sel:[0,1,0] op_sel_hi:[1,1,0]
	v_cvt_f32_i32_e32 v11, v57
	v_fma_mix_f32 v8, v49, v2, v8 op_sel_hi:[1,1,0]
	v_sub_u32_sdwa v59, v74, v26 dst_sel:DWORD dst_unused:UNUSED_PAD src0_sel:BYTE_1 src1_sel:DWORD
	v_fma_mix_f32 v8, v50, v2, v8 op_sel:[0,1,0] op_sel_hi:[1,1,0]
	v_sub_u32_sdwa v60, v74, v26 dst_sel:DWORD dst_unused:UNUSED_PAD src0_sel:BYTE_2 src1_sel:DWORD
	v_cvt_f16_f32_e32 v55, v9
	v_cvt_f32_i32_e32 v9, v59
	v_fma_mix_f32 v8, v51, v3, v8 op_sel_hi:[1,1,0]
	v_sub_u32_sdwa v61, v74, v26 dst_sel:DWORD dst_unused:UNUSED_PAD src0_sel:BYTE_3 src1_sel:DWORD
	v_cvt_f16_f32_e32 v56, v10
	v_cvt_f32_i32_e32 v10, v60
	v_fma_mix_f32 v8, v52, v3, v8 op_sel:[0,1,0] op_sel_hi:[1,1,0]
	v_cvt_f16_f32_e32 v57, v11
	v_cvt_f32_i32_e32 v11, v61
	v_fma_mixlo_f16 v8, v8, v14, 0 op_sel:[0,1,0] op_sel_hi:[0,1,0]
	v_add_f16_e32 v35, v66, v8
	v_fma_mix_f32 v8, v54, v0, 0 op_sel_hi:[1,1,0]
	v_sub_u32_sdwa v63, v71, v25 dst_sel:DWORD dst_unused:UNUSED_PAD src0_sel:BYTE_1 src1_sel:DWORD
	v_cvt_f16_f32_e32 v59, v9
	v_fma_mix_f32 v8, v55, v0, v8 op_sel:[0,1,0] op_sel_hi:[1,1,0]
	v_sub_u32_sdwa v64, v71, v25 dst_sel:DWORD dst_unused:UNUSED_PAD src0_sel:BYTE_2 src1_sel:DWORD
	v_cvt_f16_f32_e32 v60, v10
	v_cvt_f32_i32_e32 v9, v63
	v_fma_mix_f32 v8, v56, v1, v8 op_sel_hi:[1,1,0]
	v_sub_u32_sdwa v68, v71, v25 dst_sel:DWORD dst_unused:UNUSED_PAD src0_sel:BYTE_3 src1_sel:DWORD
	v_cvt_f16_f32_e32 v61, v11
	v_cvt_f32_i32_e32 v10, v64
	v_fma_mix_f32 v8, v57, v1, v8 op_sel:[0,1,0] op_sel_hi:[1,1,0]
	v_cvt_f32_i32_e32 v11, v68
	v_fma_mix_f32 v8, v58, v2, v8 op_sel_hi:[1,1,0]
	v_sub_u32_sdwa v70, v75, v25 dst_sel:DWORD dst_unused:UNUSED_PAD src0_sel:BYTE_1 src1_sel:DWORD
	v_fma_mix_f32 v8, v59, v2, v8 op_sel:[0,1,0] op_sel_hi:[1,1,0]
	v_sub_u32_sdwa v71, v75, v25 dst_sel:DWORD dst_unused:UNUSED_PAD src0_sel:BYTE_2 src1_sel:DWORD
	v_cvt_f16_f32_e32 v63, v9
	v_cvt_f32_i32_e32 v9, v70
	v_fma_mix_f32 v8, v60, v3, v8 op_sel_hi:[1,1,0]
	v_sub_u32_sdwa v72, v75, v25 dst_sel:DWORD dst_unused:UNUSED_PAD src0_sel:BYTE_3 src1_sel:DWORD
	v_cvt_f16_f32_e32 v64, v10
	v_cvt_f32_i32_e32 v10, v71
	v_fma_mix_f32 v8, v61, v3, v8 op_sel:[0,1,0] op_sel_hi:[1,1,0]
	v_cvt_f16_f32_e32 v68, v11
	v_cvt_f32_i32_e32 v11, v72
	v_fma_mixlo_f16 v8, v8, v15, 0 op_sel_hi:[0,1,0]
	v_add_f16_e32 v33, v67, v8
	v_fma_mix_f32 v8, v62, v0, 0 op_sel_hi:[1,1,0]
	v_cvt_f16_f32_e32 v71, v9
	v_fma_mix_f32 v0, v63, v0, v8 op_sel:[0,1,0] op_sel_hi:[1,1,0]
	v_cvt_f16_f32_e32 v72, v10
	v_fma_mix_f32 v0, v64, v1, v0 op_sel_hi:[1,1,0]
	v_cvt_f16_f32_e32 v73, v11
	v_fma_mix_f32 v0, v68, v1, v0 op_sel:[0,1,0] op_sel_hi:[1,1,0]
	s_waitcnt lgkmcnt(0)
	v_fma_mix_f32 v30, v30, v4, 0 op_sel_hi:[1,1,0]
	v_fma_mix_f32 v0, v69, v2, v0 op_sel_hi:[1,1,0]
	v_fma_mix_f32 v30, v38, v4, v30 op_sel:[0,1,0] op_sel_hi:[1,1,0]
	v_fma_mix_f32 v0, v71, v2, v0 op_sel:[0,1,0] op_sel_hi:[1,1,0]
	v_fma_mix_f32 v30, v39, v5, v30 op_sel_hi:[1,1,0]
	v_fma_mix_f32 v0, v72, v3, v0 op_sel_hi:[1,1,0]
	v_fma_mix_f32 v30, v40, v5, v30 op_sel:[0,1,0] op_sel_hi:[1,1,0]
	v_fma_mix_f32 v2, v73, v3, v0 op_sel:[0,1,0] op_sel_hi:[1,1,0]
	v_lshl_add_u64 v[0:1], v[18:19], 0, s[2:3]
	global_load_dwordx4 v[8:11], v[0:1], off
	v_fma_mixlo_f16 v2, v2, v15, 0 op_sel:[0,1,0] op_sel_hi:[0,1,0]
	v_lshl_add_u64 v[18:19], v[0:1], 0, s[2:3]
	v_add_f16_e32 v70, v32, v2
	global_load_dwordx4 v[0:3], v[18:19], off
	v_fma_mix_f32 v32, v45, v4, 0 op_sel_hi:[1,1,0]
	v_fma_mix_f32 v30, v41, v6, v30 op_sel_hi:[1,1,0]
	v_fma_mix_f32 v32, v46, v4, v32 op_sel:[0,1,0] op_sel_hi:[1,1,0]
	v_fma_mix_f32 v30, v42, v6, v30 op_sel:[0,1,0] op_sel_hi:[1,1,0]
	v_fma_mix_f32 v32, v47, v5, v32 op_sel_hi:[1,1,0]
	v_fma_mix_f32 v30, v43, v7, v30 op_sel_hi:[1,1,0]
	v_fma_mix_f32 v32, v48, v5, v32 op_sel:[0,1,0] op_sel_hi:[1,1,0]
	v_fma_mix_f32 v30, v44, v7, v30 op_sel:[0,1,0] op_sel_hi:[1,1,0]
	v_fma_mix_f32 v32, v49, v6, v32 op_sel_hi:[1,1,0]
	v_fma_mixlo_f16 v30, v30, v14, 0 op_sel_hi:[0,1,0]
	v_fma_mix_f32 v32, v50, v6, v32 op_sel:[0,1,0] op_sel_hi:[1,1,0]
	v_add_f16_e32 v30, v53, v30
	v_fma_mix_f32 v32, v51, v7, v32 op_sel_hi:[1,1,0]
	v_lshl_add_u64 v[18:19], v[18:19], 0, s[2:3]
	v_fma_mix_f32 v32, v52, v7, v32 op_sel:[0,1,0] op_sel_hi:[1,1,0]
	s_waitcnt vmcnt(1)
	v_sub_u32_sdwa v38, v8, v28 dst_sel:DWORD dst_unused:UNUSED_PAD src0_sel:BYTE_0 src1_sel:DWORD
	v_fma_mixlo_f16 v32, v32, v14, 0 op_sel:[0,1,0] op_sel_hi:[0,1,0]
	v_add_f16_e32 v31, v31, v32
	v_fma_mix_f32 v32, v54, v4, 0 op_sel_hi:[1,1,0]
	v_sub_u32_sdwa v39, v8, v28 dst_sel:DWORD dst_unused:UNUSED_PAD src0_sel:BYTE_1 src1_sel:DWORD
	v_fma_mix_f32 v32, v55, v4, v32 op_sel:[0,1,0] op_sel_hi:[1,1,0]
	v_sub_u32_sdwa v40, v8, v28 dst_sel:DWORD dst_unused:UNUSED_PAD src0_sel:BYTE_2 src1_sel:DWORD
	v_fma_mix_f32 v32, v56, v5, v32 op_sel_hi:[1,1,0]
	v_sub_u32_sdwa v8, v8, v28 dst_sel:DWORD dst_unused:UNUSED_PAD src0_sel:BYTE_3 src1_sel:DWORD
	v_fma_mix_f32 v32, v57, v5, v32 op_sel:[0,1,0] op_sel_hi:[1,1,0]
	v_cvt_f32_i32_e32 v8, v8
	v_fma_mix_f32 v32, v58, v6, v32 op_sel_hi:[1,1,0]
	s_waitcnt vmcnt(0)
	v_sub_u32_sdwa v41, v0, v28 dst_sel:DWORD dst_unused:UNUSED_PAD src0_sel:BYTE_0 src1_sel:DWORD
	v_fma_mix_f32 v32, v59, v6, v32 op_sel:[0,1,0] op_sel_hi:[1,1,0]
	v_sub_u32_sdwa v42, v0, v28 dst_sel:DWORD dst_unused:UNUSED_PAD src0_sel:BYTE_1 src1_sel:DWORD
	v_fma_mix_f32 v32, v60, v7, v32 op_sel_hi:[1,1,0]
	v_sub_u32_sdwa v43, v0, v28 dst_sel:DWORD dst_unused:UNUSED_PAD src0_sel:BYTE_2 src1_sel:DWORD
	v_fma_mix_f32 v32, v61, v7, v32 op_sel:[0,1,0] op_sel_hi:[1,1,0]
	v_sub_u32_sdwa v0, v0, v28 dst_sel:DWORD dst_unused:UNUSED_PAD src0_sel:BYTE_3 src1_sel:DWORD
	v_fma_mixlo_f16 v32, v32, v15, 0 op_sel_hi:[0,1,0]
	v_add_f16_e32 v32, v37, v32
	v_fma_mix_f32 v37, v62, v4, 0 op_sel_hi:[1,1,0]
	v_cvt_f32_i32_e32 v0, v0
	v_fma_mix_f32 v4, v63, v4, v37 op_sel:[0,1,0] op_sel_hi:[1,1,0]
	v_sub_u32_sdwa v45, v9, v27 dst_sel:DWORD dst_unused:UNUSED_PAD src0_sel:BYTE_0 src1_sel:DWORD
	v_fma_mix_f32 v4, v64, v5, v4 op_sel_hi:[1,1,0]
	v_sub_u32_sdwa v46, v9, v27 dst_sel:DWORD dst_unused:UNUSED_PAD src0_sel:BYTE_1 src1_sel:DWORD
	v_fma_mix_f32 v4, v68, v5, v4 op_sel:[0,1,0] op_sel_hi:[1,1,0]
	v_sub_u32_sdwa v49, v1, v27 dst_sel:DWORD dst_unused:UNUSED_PAD src0_sel:BYTE_0 src1_sel:DWORD
	v_fma_mix_f32 v4, v69, v6, v4 op_sel_hi:[1,1,0]
	v_sub_u32_sdwa v50, v1, v27 dst_sel:DWORD dst_unused:UNUSED_PAD src0_sel:BYTE_1 src1_sel:DWORD
	v_fma_mix_f32 v4, v71, v6, v4 op_sel:[0,1,0] op_sel_hi:[1,1,0]
	v_sub_u32_sdwa v51, v1, v27 dst_sel:DWORD dst_unused:UNUSED_PAD src0_sel:BYTE_2 src1_sel:DWORD
	v_fma_mix_f32 v4, v72, v7, v4 op_sel_hi:[1,1,0]
	v_sub_u32_sdwa v1, v1, v27 dst_sel:DWORD dst_unused:UNUSED_PAD src0_sel:BYTE_3 src1_sel:DWORD
	v_fma_mix_f32 v37, v73, v7, v4 op_sel:[0,1,0] op_sel_hi:[1,1,0]
	v_cvt_f32_i32_e32 v1, v1
	v_fma_mixlo_f16 v37, v37, v15, 0 op_sel:[0,1,0] op_sel_hi:[0,1,0]
	v_add_f16_e32 v36, v36, v37
	v_cvt_f32_i32_e32 v37, v38
	v_cvt_f32_i32_e32 v38, v39
	;; [unrolled: 1-line block ×3, first 2 shown]
	v_cvt_f16_f32_e32 v40, v8
	v_cvt_f32_i32_e32 v8, v41
	v_cvt_f32_i32_e32 v41, v42
	;; [unrolled: 1-line block ×3, first 2 shown]
	v_sub_u32_sdwa v53, v10, v26 dst_sel:DWORD dst_unused:UNUSED_PAD src0_sel:BYTE_0 src1_sel:DWORD
	v_cvt_f16_f32_e32 v43, v8
	v_cvt_f16_f32_e32 v44, v41
	;; [unrolled: 1-line block ×4, first 2 shown]
	v_cvt_f32_i32_e32 v0, v45
	v_cvt_f32_i32_e32 v8, v46
	v_sub_u32_sdwa v54, v10, v26 dst_sel:DWORD dst_unused:UNUSED_PAD src0_sel:BYTE_1 src1_sel:DWORD
	v_cvt_f16_f32_e32 v52, v1
	v_cvt_f16_f32_e32 v45, v0
	v_cvt_f32_i32_e32 v0, v49
	v_cvt_f16_f32_e32 v46, v8
	v_cvt_f32_i32_e32 v8, v50
	v_cvt_f32_i32_e32 v1, v54
	v_cvt_f16_f32_e32 v49, v0
	v_cvt_f32_i32_e32 v0, v53
	v_sub_u32_sdwa v55, v10, v26 dst_sel:DWORD dst_unused:UNUSED_PAD src0_sel:BYTE_2 src1_sel:DWORD
	v_sub_u32_sdwa v57, v2, v26 dst_sel:DWORD dst_unused:UNUSED_PAD src0_sel:BYTE_0 src1_sel:DWORD
	v_sub_u32_sdwa v58, v2, v26 dst_sel:DWORD dst_unused:UNUSED_PAD src0_sel:BYTE_1 src1_sel:DWORD
	v_sub_u32_sdwa v59, v2, v26 dst_sel:DWORD dst_unused:UNUSED_PAD src0_sel:BYTE_2 src1_sel:DWORD
	v_sub_u32_sdwa v2, v2, v26 dst_sel:DWORD dst_unused:UNUSED_PAD src0_sel:BYTE_3 src1_sel:DWORD
	v_cvt_f16_f32_e32 v50, v8
	v_cvt_f32_i32_e32 v8, v55
	v_cvt_f16_f32_e32 v53, v0
	v_cvt_f16_f32_e32 v54, v1
	v_cvt_f32_i32_e32 v0, v57
	v_cvt_f32_i32_e32 v1, v58
	;; [unrolled: 1-line block ×3, first 2 shown]
	v_sub_u32_sdwa v61, v11, v25 dst_sel:DWORD dst_unused:UNUSED_PAD src0_sel:BYTE_0 src1_sel:DWORD
	v_sub_u32_sdwa v62, v11, v25 dst_sel:DWORD dst_unused:UNUSED_PAD src0_sel:BYTE_1 src1_sel:DWORD
	v_sub_u32_sdwa v63, v11, v25 dst_sel:DWORD dst_unused:UNUSED_PAD src0_sel:BYTE_2 src1_sel:DWORD
	v_cvt_f16_f32_e32 v55, v8
	v_cvt_f32_i32_e32 v8, v59
	v_cvt_f16_f32_e32 v57, v0
	v_cvt_f16_f32_e32 v58, v1
	;; [unrolled: 1-line block ×3, first 2 shown]
	v_cvt_f32_i32_e32 v0, v61
	v_cvt_f32_i32_e32 v1, v62
	;; [unrolled: 1-line block ×3, first 2 shown]
	v_sub_u32_sdwa v11, v11, v25 dst_sel:DWORD dst_unused:UNUSED_PAD src0_sel:BYTE_3 src1_sel:DWORD
	v_sub_u32_sdwa v65, v3, v25 dst_sel:DWORD dst_unused:UNUSED_PAD src0_sel:BYTE_0 src1_sel:DWORD
	v_sub_u32_sdwa v66, v3, v25 dst_sel:DWORD dst_unused:UNUSED_PAD src0_sel:BYTE_1 src1_sel:DWORD
	v_sub_u32_sdwa v67, v3, v25 dst_sel:DWORD dst_unused:UNUSED_PAD src0_sel:BYTE_2 src1_sel:DWORD
	v_sub_u32_sdwa v3, v3, v25 dst_sel:DWORD dst_unused:UNUSED_PAD src0_sel:BYTE_3 src1_sel:DWORD
	ds_read_b128 v[4:7], v29 offset:32
	v_cvt_f16_f32_e32 v37, v37
	v_cvt_f16_f32_e32 v59, v8
	v_cvt_f32_i32_e32 v8, v11
	v_cvt_f16_f32_e32 v61, v0
	v_cvt_f16_f32_e32 v62, v1
	;; [unrolled: 1-line block ×3, first 2 shown]
	v_cvt_f32_i32_e32 v0, v65
	v_cvt_f32_i32_e32 v1, v66
	;; [unrolled: 1-line block ×4, first 2 shown]
	v_cvt_f16_f32_e32 v38, v38
	v_cvt_f16_f32_e32 v39, v39
	;; [unrolled: 1-line block ×7, first 2 shown]
	ds_read_b128 v[0:3], v29 offset:48
	s_waitcnt lgkmcnt(1)
	v_fma_mix_f32 v8, v37, v4, 0 op_sel_hi:[1,1,0]
	v_sub_u32_sdwa v47, v9, v27 dst_sel:DWORD dst_unused:UNUSED_PAD src0_sel:BYTE_2 src1_sel:DWORD
	v_fma_mix_f32 v8, v38, v4, v8 op_sel:[0,1,0] op_sel_hi:[1,1,0]
	v_sub_u32_sdwa v9, v9, v27 dst_sel:DWORD dst_unused:UNUSED_PAD src0_sel:BYTE_3 src1_sel:DWORD
	v_fma_mix_f32 v8, v39, v5, v8 op_sel_hi:[1,1,0]
	v_cvt_f32_i32_e32 v47, v47
	v_cvt_f32_i32_e32 v9, v9
	v_fma_mix_f32 v8, v40, v5, v8 op_sel:[0,1,0] op_sel_hi:[1,1,0]
	v_sub_u32_sdwa v10, v10, v26 dst_sel:DWORD dst_unused:UNUSED_PAD src0_sel:BYTE_3 src1_sel:DWORD
	v_fma_mix_f32 v8, v43, v6, v8 op_sel_hi:[1,1,0]
	v_cvt_f16_f32_e32 v47, v47
	v_fma_mix_f32 v8, v44, v6, v8 op_sel:[0,1,0] op_sel_hi:[1,1,0]
	v_cvt_f16_f32_e32 v48, v9
	v_fma_mix_f32 v8, v41, v7, v8 op_sel_hi:[1,1,0]
	v_cvt_f32_i32_e32 v9, v51
	v_fma_mix_f32 v8, v42, v7, v8 op_sel:[0,1,0] op_sel_hi:[1,1,0]
	v_cvt_f16_f32_e32 v51, v9
	v_fma_mixlo_f16 v8, v8, v14, 0 op_sel_hi:[0,1,0]
	v_add_f16_e32 v34, v34, v8
	v_fma_mix_f32 v8, v45, v4, 0 op_sel_hi:[1,1,0]
	v_cvt_f32_i32_e32 v9, v10
	v_fma_mix_f32 v8, v46, v4, v8 op_sel:[0,1,0] op_sel_hi:[1,1,0]
	v_cvt_f16_f32_e32 v56, v9
	v_fma_mix_f32 v8, v47, v5, v8 op_sel_hi:[1,1,0]
	s_nop 0
	v_fma_mix_f32 v8, v48, v5, v8 op_sel:[0,1,0] op_sel_hi:[1,1,0]
	s_nop 0
	v_fma_mix_f32 v8, v49, v6, v8 op_sel_hi:[1,1,0]
	s_nop 0
	v_fma_mix_f32 v8, v50, v6, v8 op_sel:[0,1,0] op_sel_hi:[1,1,0]
	s_nop 0
	;; [unrolled: 4-line block ×3, first 2 shown]
	v_fma_mixlo_f16 v8, v8, v14, 0 op_sel:[0,1,0] op_sel_hi:[0,1,0]
	v_add_f16_e32 v35, v35, v8
	v_fma_mix_f32 v8, v53, v4, 0 op_sel_hi:[1,1,0]
	s_nop 0
	v_fma_mix_f32 v8, v54, v4, v8 op_sel:[0,1,0] op_sel_hi:[1,1,0]
	s_nop 0
	v_fma_mix_f32 v8, v55, v5, v8 op_sel_hi:[1,1,0]
	s_nop 0
	v_fma_mix_f32 v8, v56, v5, v8 op_sel:[0,1,0] op_sel_hi:[1,1,0]
	s_nop 0
	;; [unrolled: 4-line block ×4, first 2 shown]
	v_fma_mixlo_f16 v69, v8, v15, 0 op_sel_hi:[0,1,0]
	v_fma_mix_f32 v8, v61, v4, 0 op_sel_hi:[1,1,0]
	v_add_f16_e32 v69, v33, v69
	v_fma_mix_f32 v4, v62, v4, v8 op_sel:[0,1,0] op_sel_hi:[1,1,0]
	ds_read_b128 v[8:11], v29 offset:288
	v_fma_mix_f32 v4, v63, v5, v4 op_sel_hi:[1,1,0]
	s_nop 0
	v_fma_mix_f32 v4, v64, v5, v4 op_sel:[0,1,0] op_sel_hi:[1,1,0]
	s_nop 0
	v_fma_mix_f32 v4, v65, v6, v4 op_sel_hi:[1,1,0]
	s_nop 0
	v_fma_mix_f32 v4, v66, v6, v4 op_sel:[0,1,0] op_sel_hi:[1,1,0]
	s_nop 0
	;; [unrolled: 4-line block ×3, first 2 shown]
	v_fma_mixlo_f16 v4, v4, v15, 0 op_sel:[0,1,0] op_sel_hi:[0,1,0]
	v_add_f16_e32 v33, v70, v4
	global_load_dwordx4 v[70:73], v[18:19], off
	v_lshl_add_u64 v[18:19], v[18:19], 0, s[2:3]
	global_load_dwordx4 v[74:77], v[18:19], off
	ds_read_b128 v[4:7], v29 offset:304
	s_waitcnt lgkmcnt(1)
	v_fma_mix_f32 v29, v37, v8, 0 op_sel_hi:[1,1,0]
	s_nop 0
	v_fma_mix_f32 v29, v38, v8, v29 op_sel:[0,1,0] op_sel_hi:[1,1,0]
	s_nop 0
	v_fma_mix_f32 v29, v39, v9, v29 op_sel_hi:[1,1,0]
	s_waitcnt vmcnt(1)
	v_sub_u32_sdwa v39, v71, v27 dst_sel:DWORD dst_unused:UNUSED_PAD src0_sel:BYTE_2 src1_sel:DWORD
	v_fma_mix_f32 v29, v40, v9, v29 op_sel:[0,1,0] op_sel_hi:[1,1,0]
	s_nop 0
	v_fma_mix_f32 v29, v43, v10, v29 op_sel_hi:[1,1,0]
	s_waitcnt vmcnt(0)
	v_sub_u32_sdwa v43, v75, v27 dst_sel:DWORD dst_unused:UNUSED_PAD src0_sel:BYTE_2 src1_sel:DWORD
	v_fma_mix_f32 v29, v44, v10, v29 op_sel:[0,1,0] op_sel_hi:[1,1,0]
	v_cvt_f32_i32_e32 v44, v43
	v_fma_mix_f32 v18, v41, v11, v29 op_sel_hi:[1,1,0]
	v_cvt_f32_i32_e32 v41, v39
	v_fma_mix_f32 v18, v42, v11, v18 op_sel:[0,1,0] op_sel_hi:[1,1,0]
	v_sub_u32_sdwa v39, v71, v27 dst_sel:DWORD dst_unused:UNUSED_PAD src0_sel:BYTE_3 src1_sel:DWORD
	v_fma_mixlo_f16 v18, v18, v14, 0 op_sel_hi:[0,1,0]
	v_add_f16_e32 v19, v30, v18
	v_fma_mix_f32 v18, v45, v8, 0 op_sel_hi:[1,1,0]
	v_fma_mix_f32 v30, v61, v8, 0 op_sel_hi:[1,1,0]
	v_fma_mix_f32 v18, v46, v8, v18 op_sel:[0,1,0] op_sel_hi:[1,1,0]
	v_cvt_f32_i32_e32 v42, v39
	v_fma_mix_f32 v18, v47, v9, v18 op_sel_hi:[1,1,0]
	v_sub_u32_sdwa v46, v72, v26 dst_sel:DWORD dst_unused:UNUSED_PAD src0_sel:BYTE_2 src1_sel:DWORD
	v_fma_mix_f32 v18, v48, v9, v18 op_sel:[0,1,0] op_sel_hi:[1,1,0]
	v_cvt_f32_i32_e32 v48, v46
	v_fma_mix_f32 v18, v49, v10, v18 op_sel_hi:[1,1,0]
	v_sub_u32_sdwa v46, v72, v26 dst_sel:DWORD dst_unused:UNUSED_PAD src0_sel:BYTE_3 src1_sel:DWORD
	v_fma_mix_f32 v18, v50, v10, v18 op_sel:[0,1,0] op_sel_hi:[1,1,0]
	v_cvt_f32_i32_e32 v49, v46
	v_fma_mix_f32 v18, v51, v11, v18 op_sel_hi:[1,1,0]
	v_sub_u32_sdwa v50, v76, v26 dst_sel:DWORD dst_unused:UNUSED_PAD src0_sel:BYTE_2 src1_sel:DWORD
	v_fma_mix_f32 v18, v52, v11, v18 op_sel:[0,1,0] op_sel_hi:[1,1,0]
	v_cvt_f32_i32_e32 v51, v50
	v_fma_mixlo_f16 v18, v18, v14, 0 op_sel:[0,1,0] op_sel_hi:[0,1,0]
	v_add_f16_e32 v29, v31, v18
	v_fma_mix_f32 v18, v53, v8, 0 op_sel_hi:[1,1,0]
	v_sub_u32_sdwa v53, v73, v25 dst_sel:DWORD dst_unused:UNUSED_PAD src0_sel:BYTE_2 src1_sel:DWORD
	v_fma_mix_f32 v18, v54, v8, v18 op_sel:[0,1,0] op_sel_hi:[1,1,0]
	v_fma_mix_f32 v8, v62, v8, v30 op_sel:[0,1,0] op_sel_hi:[1,1,0]
	v_fma_mix_f32 v18, v55, v9, v18 op_sel_hi:[1,1,0]
	v_fma_mix_f32 v8, v63, v9, v8 op_sel_hi:[1,1,0]
	v_fma_mix_f32 v18, v56, v9, v18 op_sel:[0,1,0] op_sel_hi:[1,1,0]
	v_fma_mix_f32 v8, v64, v9, v8 op_sel:[0,1,0] op_sel_hi:[1,1,0]
	v_fma_mix_f32 v18, v57, v10, v18 op_sel_hi:[1,1,0]
	v_fma_mix_f32 v8, v65, v10, v8 op_sel_hi:[1,1,0]
	v_fma_mix_f32 v18, v58, v10, v18 op_sel:[0,1,0] op_sel_hi:[1,1,0]
	v_fma_mix_f32 v8, v66, v10, v8 op_sel:[0,1,0] op_sel_hi:[1,1,0]
	v_fma_mix_f32 v18, v59, v11, v18 op_sel_hi:[1,1,0]
	v_fma_mix_f32 v8, v67, v11, v8 op_sel_hi:[1,1,0]
	v_sub_u32_sdwa v10, v70, v28 dst_sel:DWORD dst_unused:UNUSED_PAD src0_sel:BYTE_1 src1_sel:DWORD
	v_fma_mix_f32 v8, v68, v11, v8 op_sel:[0,1,0] op_sel_hi:[1,1,0]
	v_fma_mix_f32 v18, v60, v11, v18 op_sel:[0,1,0] op_sel_hi:[1,1,0]
	v_fma_mixlo_f16 v8, v8, v15, 0 op_sel:[0,1,0] op_sel_hi:[0,1,0]
	v_add_f16_e32 v9, v36, v8
	v_sub_u32_sdwa v8, v70, v28 dst_sel:DWORD dst_unused:UNUSED_PAD src0_sel:BYTE_0 src1_sel:DWORD
	v_cvt_f32_i32_e32 v8, v8
	v_cvt_f32_i32_e32 v11, v10
	v_sub_u32_sdwa v10, v70, v28 dst_sel:DWORD dst_unused:UNUSED_PAD src0_sel:BYTE_2 src1_sel:DWORD
	v_fma_mixlo_f16 v18, v18, v15, 0 op_sel_hi:[0,1,0]
	v_cvt_f32_i32_e32 v30, v10
	v_sub_u32_sdwa v10, v70, v28 dst_sel:DWORD dst_unused:UNUSED_PAD src0_sel:BYTE_3 src1_sel:DWORD
	v_add_f16_e32 v18, v32, v18
	v_cvt_f32_i32_e32 v31, v10
	v_cvt_f16_f32_e32 v10, v8
	v_sub_u32_sdwa v8, v74, v28 dst_sel:DWORD dst_unused:UNUSED_PAD src0_sel:BYTE_0 src1_sel:DWORD
	v_sub_u32_sdwa v32, v74, v28 dst_sel:DWORD dst_unused:UNUSED_PAD src0_sel:BYTE_1 src1_sel:DWORD
	v_cvt_f32_i32_e32 v8, v8
	v_cvt_f32_i32_e32 v32, v32
	v_sub_u32_sdwa v36, v74, v28 dst_sel:DWORD dst_unused:UNUSED_PAD src0_sel:BYTE_2 src1_sel:DWORD
	v_sub_u32_sdwa v28, v74, v28 dst_sel:DWORD dst_unused:UNUSED_PAD src0_sel:BYTE_3 src1_sel:DWORD
	v_cvt_f32_i32_e32 v37, v36
	v_cvt_f32_i32_e32 v38, v28
	v_cvt_f16_f32_e32 v28, v8
	v_cvt_f16_f32_e32 v36, v32
	v_sub_u32_sdwa v8, v71, v27 dst_sel:DWORD dst_unused:UNUSED_PAD src0_sel:BYTE_0 src1_sel:DWORD
	v_sub_u32_sdwa v32, v71, v27 dst_sel:DWORD dst_unused:UNUSED_PAD src0_sel:BYTE_1 src1_sel:DWORD
	v_cvt_f32_i32_e32 v8, v8
	v_cvt_f32_i32_e32 v32, v32
	;; [unrolled: 1-line block ×3, first 2 shown]
	v_sub_u32_sdwa v53, v73, v25 dst_sel:DWORD dst_unused:UNUSED_PAD src0_sel:BYTE_3 src1_sel:DWORD
	v_cvt_f16_f32_e32 v39, v8
	v_cvt_f16_f32_e32 v40, v32
	v_sub_u32_sdwa v8, v75, v27 dst_sel:DWORD dst_unused:UNUSED_PAD src0_sel:BYTE_0 src1_sel:DWORD
	v_sub_u32_sdwa v32, v75, v27 dst_sel:DWORD dst_unused:UNUSED_PAD src0_sel:BYTE_1 src1_sel:DWORD
	v_cvt_f32_i32_e32 v8, v8
	v_cvt_f32_i32_e32 v32, v32
	v_sub_u32_sdwa v27, v75, v27 dst_sel:DWORD dst_unused:UNUSED_PAD src0_sel:BYTE_3 src1_sel:DWORD
	v_cvt_f32_i32_e32 v45, v27
	v_cvt_f16_f32_e32 v27, v8
	v_cvt_f16_f32_e32 v43, v32
	v_sub_u32_sdwa v8, v72, v26 dst_sel:DWORD dst_unused:UNUSED_PAD src0_sel:BYTE_0 src1_sel:DWORD
	v_sub_u32_sdwa v32, v72, v26 dst_sel:DWORD dst_unused:UNUSED_PAD src0_sel:BYTE_1 src1_sel:DWORD
	v_cvt_f32_i32_e32 v8, v8
	v_cvt_f32_i32_e32 v32, v32
	;; [unrolled: 1-line block ×3, first 2 shown]
	v_cvt_f16_f32_e32 v11, v11
	v_cvt_f16_f32_e32 v46, v8
	v_cvt_f16_f32_e32 v47, v32
	v_sub_u32_sdwa v8, v76, v26 dst_sel:DWORD dst_unused:UNUSED_PAD src0_sel:BYTE_0 src1_sel:DWORD
	v_sub_u32_sdwa v32, v76, v26 dst_sel:DWORD dst_unused:UNUSED_PAD src0_sel:BYTE_1 src1_sel:DWORD
	v_cvt_f32_i32_e32 v8, v8
	v_cvt_f32_i32_e32 v32, v32
	v_sub_u32_sdwa v26, v76, v26 dst_sel:DWORD dst_unused:UNUSED_PAD src0_sel:BYTE_3 src1_sel:DWORD
	v_cvt_f32_i32_e32 v52, v26
	v_cvt_f16_f32_e32 v26, v8
	v_cvt_f16_f32_e32 v50, v32
	v_sub_u32_sdwa v8, v73, v25 dst_sel:DWORD dst_unused:UNUSED_PAD src0_sel:BYTE_0 src1_sel:DWORD
	v_sub_u32_sdwa v32, v73, v25 dst_sel:DWORD dst_unused:UNUSED_PAD src0_sel:BYTE_1 src1_sel:DWORD
	v_cvt_f32_i32_e32 v8, v8
	v_cvt_f32_i32_e32 v32, v32
	v_cvt_f16_f32_e32 v30, v30
	v_cvt_f16_f32_e32 v41, v41
	;; [unrolled: 1-line block ×4, first 2 shown]
	v_sub_u32_sdwa v8, v77, v25 dst_sel:DWORD dst_unused:UNUSED_PAD src0_sel:BYTE_0 src1_sel:DWORD
	v_sub_u32_sdwa v32, v77, v25 dst_sel:DWORD dst_unused:UNUSED_PAD src0_sel:BYTE_1 src1_sel:DWORD
	v_cvt_f32_i32_e32 v8, v8
	v_cvt_f32_i32_e32 v32, v32
	v_cvt_f16_f32_e32 v31, v31
	v_cvt_f16_f32_e32 v42, v42
	v_sub_u32_sdwa v57, v77, v25 dst_sel:DWORD dst_unused:UNUSED_PAD src0_sel:BYTE_2 src1_sel:DWORD
	v_sub_u32_sdwa v25, v77, v25 dst_sel:DWORD dst_unused:UNUSED_PAD src0_sel:BYTE_3 src1_sel:DWORD
	v_cvt_f32_i32_e32 v58, v57
	v_cvt_f32_i32_e32 v59, v25
	v_cvt_f16_f32_e32 v25, v8
	v_cvt_f16_f32_e32 v57, v32
	v_fma_mix_f32 v8, v10, v0, 0 op_sel_hi:[1,1,0]
	v_fma_mix_f32 v32, v39, v0, 0 op_sel_hi:[1,1,0]
	v_fma_mix_f32 v8, v11, v0, v8 op_sel:[0,1,0] op_sel_hi:[1,1,0]
	v_fma_mix_f32 v32, v40, v0, v32 op_sel:[0,1,0] op_sel_hi:[1,1,0]
	v_cvt_f16_f32_e32 v37, v37
	v_cvt_f16_f32_e32 v44, v44
	v_fma_mix_f32 v8, v30, v1, v8 op_sel_hi:[1,1,0]
	v_fma_mix_f32 v32, v41, v1, v32 op_sel_hi:[1,1,0]
	v_cvt_f16_f32_e32 v38, v38
	v_cvt_f16_f32_e32 v45, v45
	v_fma_mix_f32 v8, v31, v1, v8 op_sel:[0,1,0] op_sel_hi:[1,1,0]
	v_fma_mix_f32 v32, v42, v1, v32 op_sel:[0,1,0] op_sel_hi:[1,1,0]
	v_fma_mix_f32 v8, v28, v2, v8 op_sel_hi:[1,1,0]
	v_fma_mix_f32 v32, v27, v2, v32 op_sel_hi:[1,1,0]
	v_fma_mix_f32 v8, v36, v2, v8 op_sel:[0,1,0] op_sel_hi:[1,1,0]
	v_fma_mix_f32 v32, v43, v2, v32 op_sel:[0,1,0] op_sel_hi:[1,1,0]
	v_fma_mix_f32 v8, v37, v3, v8 op_sel_hi:[1,1,0]
	v_fma_mix_f32 v32, v44, v3, v32 op_sel_hi:[1,1,0]
	v_fma_mix_f32 v8, v38, v3, v8 op_sel:[0,1,0] op_sel_hi:[1,1,0]
	v_fma_mix_f32 v32, v45, v3, v32 op_sel:[0,1,0] op_sel_hi:[1,1,0]
	v_cvt_f16_f32_e32 v48, v48
	v_cvt_f16_f32_e32 v55, v55
	v_fma_mixlo_f16 v8, v8, v14, 0 op_sel_hi:[0,1,0]
	v_fma_mixlo_f16 v32, v32, v14, 0 op_sel:[0,1,0] op_sel_hi:[0,1,0]
	v_cvt_f16_f32_e32 v49, v49
	v_cvt_f16_f32_e32 v56, v56
	v_add_f16_e32 v8, v34, v8
	v_add_f16_e32 v32, v35, v32
	v_pack_b32_f16 v8, v8, v32
	v_fma_mix_f32 v32, v46, v0, 0 op_sel_hi:[1,1,0]
	v_fma_mix_f32 v34, v53, v0, 0 op_sel_hi:[1,1,0]
	v_fma_mix_f32 v32, v47, v0, v32 op_sel:[0,1,0] op_sel_hi:[1,1,0]
	v_fma_mix_f32 v0, v54, v0, v34 op_sel:[0,1,0] op_sel_hi:[1,1,0]
	v_cvt_f16_f32_e32 v51, v51
	v_cvt_f16_f32_e32 v58, v58
	v_fma_mix_f32 v32, v48, v1, v32 op_sel_hi:[1,1,0]
	v_fma_mix_f32 v0, v55, v1, v0 op_sel_hi:[1,1,0]
	v_cvt_f16_f32_e32 v52, v52
	v_cvt_f16_f32_e32 v59, v59
	v_fma_mix_f32 v32, v49, v1, v32 op_sel:[0,1,0] op_sel_hi:[1,1,0]
	v_fma_mix_f32 v0, v56, v1, v0 op_sel:[0,1,0] op_sel_hi:[1,1,0]
	v_fma_mix_f32 v32, v26, v2, v32 op_sel_hi:[1,1,0]
	v_fma_mix_f32 v0, v25, v2, v0 op_sel_hi:[1,1,0]
	v_fma_mix_f32 v32, v50, v2, v32 op_sel:[0,1,0] op_sel_hi:[1,1,0]
	v_fma_mix_f32 v0, v57, v2, v0 op_sel:[0,1,0] op_sel_hi:[1,1,0]
	v_fma_mix_f32 v32, v51, v3, v32 op_sel_hi:[1,1,0]
	v_fma_mix_f32 v0, v58, v3, v0 op_sel_hi:[1,1,0]
	v_fma_mix_f32 v32, v52, v3, v32 op_sel:[0,1,0] op_sel_hi:[1,1,0]
	v_fma_mix_f32 v0, v59, v3, v0 op_sel:[0,1,0] op_sel_hi:[1,1,0]
	v_fma_mixlo_f16 v32, v32, v15, 0 op_sel_hi:[0,1,0]
	v_fma_mixlo_f16 v0, v0, v15, 0 op_sel:[0,1,0] op_sel_hi:[0,1,0]
	v_add_f16_e32 v32, v69, v32
	v_add_f16_e32 v0, v33, v0
	v_pack_b32_f16 v32, v32, v0
	s_waitcnt lgkmcnt(0)
	v_fma_mix_f32 v0, v10, v4, 0 op_sel_hi:[1,1,0]
	v_fma_mix_f32 v1, v39, v4, 0 op_sel_hi:[1,1,0]
	v_fma_mix_f32 v0, v11, v4, v0 op_sel:[0,1,0] op_sel_hi:[1,1,0]
	v_fma_mix_f32 v1, v40, v4, v1 op_sel:[0,1,0] op_sel_hi:[1,1,0]
	v_fma_mix_f32 v0, v30, v5, v0 op_sel_hi:[1,1,0]
	v_fma_mix_f32 v1, v41, v5, v1 op_sel_hi:[1,1,0]
	v_fma_mix_f32 v0, v31, v5, v0 op_sel:[0,1,0] op_sel_hi:[1,1,0]
	v_fma_mix_f32 v1, v42, v5, v1 op_sel:[0,1,0] op_sel_hi:[1,1,0]
	;; [unrolled: 4-line block ×4, first 2 shown]
	v_fma_mixlo_f16 v0, v0, v14, 0 op_sel_hi:[0,1,0]
	v_fma_mixlo_f16 v1, v1, v14, 0 op_sel:[0,1,0] op_sel_hi:[0,1,0]
	v_add_f16_e32 v0, v19, v0
	v_add_f16_e32 v1, v29, v1
	v_pack_b32_f16 v31, v0, v1
	v_fma_mix_f32 v0, v46, v4, 0 op_sel_hi:[1,1,0]
	v_fma_mix_f32 v1, v53, v4, 0 op_sel_hi:[1,1,0]
	v_fma_mix_f32 v0, v47, v4, v0 op_sel:[0,1,0] op_sel_hi:[1,1,0]
	v_fma_mix_f32 v1, v54, v4, v1 op_sel:[0,1,0] op_sel_hi:[1,1,0]
	v_fma_mix_f32 v0, v48, v5, v0 op_sel_hi:[1,1,0]
	v_fma_mix_f32 v1, v55, v5, v1 op_sel_hi:[1,1,0]
	v_fma_mix_f32 v0, v49, v5, v0 op_sel:[0,1,0] op_sel_hi:[1,1,0]
	v_fma_mix_f32 v1, v56, v5, v1 op_sel:[0,1,0] op_sel_hi:[1,1,0]
	;; [unrolled: 4-line block ×4, first 2 shown]
	v_fma_mixlo_f16 v0, v0, v15, 0 op_sel_hi:[0,1,0]
	v_fma_mixlo_f16 v1, v1, v15, 0 op_sel:[0,1,0] op_sel_hi:[0,1,0]
	v_add_f16_e32 v0, v18, v0
	v_add_f16_e32 v1, v9, v1
	v_pack_b32_f16 v30, v0, v1
	s_cbranch_scc1 .LBB22_12
.LBB22_10:                              ; =>This Inner Loop Header: Depth=1
	s_cmp_lg_u32 s23, s7
	s_cbranch_scc1 .LBB22_9
; %bb.11:                               ;   in Loop: Header=BB22_10 Depth=1
	s_add_i32 s6, s6, 1
	s_mul_i32 s8, s6, s16
	s_ashr_i32 s9, s8, 31
	s_lshr_b32 s9, s9, 30
	s_add_i32 s9, s8, s9
	s_ashr_i32 s9, s9, 2
	v_add_u32_e32 v0, s9, v20
	v_ashrrev_i32_e32 v1, 31, v0
	v_lshl_add_u64 v[0:1], v[0:1], 2, s[10:11]
	global_load_dword v2, v[0:1], off
	v_add_u32_e32 v0, s8, v12
	v_ashrrev_i32_e32 v1, 31, v0
	v_lshl_add_u64 v[0:1], v[0:1], 1, s[12:13]
	global_load_dwordx2 v[14:15], v[0:1], off
	s_add_i32 s7, s7, s5
	s_waitcnt vmcnt(1)
	v_and_b32_e32 v13, 0xff, v2
	v_bfe_u32 v22, v2, 8, 8
	v_bfe_u32 v23, v2, 16, 8
	v_lshrrev_b32_e32 v24, 24, v2
	s_branch .LBB22_9
.LBB22_12:
	s_mul_i32 s22, s22, s16
	v_add_u32_e32 v0, s22, v12
	v_ashrrev_i32_e32 v1, 31, v0
	v_lshl_add_u64 v[2:3], v[0:1], 1, s[14:15]
	global_load_dword v5, v[2:3], off
	s_mov_b64 s[0:1], 0
.LBB22_13:                              ; =>This Inner Loop Header: Depth=1
	s_waitcnt vmcnt(0)
	v_pk_add_f16 v4, v8, v5
	global_atomic_cmpswap v1, v[2:3], v[4:5], off sc0
	s_waitcnt vmcnt(0)
	v_cmp_eq_u32_e32 vcc, v5, v1
	s_or_b64 s[0:1], vcc, s[0:1]
	v_mov_b32_e32 v5, v1
	s_andn2_b64 exec, exec, s[0:1]
	s_cbranch_execnz .LBB22_13
; %bb.14:
	s_or_b64 exec, exec, s[0:1]
	global_load_dword v5, v[2:3], off offset:4
	s_mov_b64 s[0:1], 0
.LBB22_15:                              ; =>This Inner Loop Header: Depth=1
	s_waitcnt vmcnt(0)
	v_pk_add_f16 v4, v32, v5
	global_atomic_cmpswap v1, v[2:3], v[4:5], off offset:4 sc0
	s_waitcnt vmcnt(0)
	v_cmp_eq_u32_e32 vcc, v5, v1
	s_or_b64 s[0:1], vcc, s[0:1]
	v_mov_b32_e32 v5, v1
	s_andn2_b64 exec, exec, s[0:1]
	s_cbranch_execnz .LBB22_15
; %bb.16:
	s_or_b64 exec, exec, s[0:1]
	v_add_u32_e32 v0, s16, v0
	v_ashrrev_i32_e32 v1, 31, v0
	v_lshl_add_u64 v[0:1], v[0:1], 1, s[14:15]
	global_load_dword v3, v[0:1], off
	s_mov_b64 s[0:1], 0
.LBB22_17:                              ; =>This Inner Loop Header: Depth=1
	s_waitcnt vmcnt(0)
	v_pk_add_f16 v2, v31, v3
	global_atomic_cmpswap v2, v[0:1], v[2:3], off sc0
	s_waitcnt vmcnt(0)
	v_cmp_eq_u32_e32 vcc, v3, v2
	s_or_b64 s[0:1], vcc, s[0:1]
	v_mov_b32_e32 v3, v2
	s_andn2_b64 exec, exec, s[0:1]
	s_cbranch_execnz .LBB22_17
; %bb.18:
	s_or_b64 exec, exec, s[0:1]
	global_load_dword v3, v[0:1], off offset:4
	s_mov_b64 s[0:1], 0
.LBB22_19:                              ; =>This Inner Loop Header: Depth=1
	s_waitcnt vmcnt(0)
	v_pk_add_f16 v2, v30, v3
	global_atomic_cmpswap v2, v[0:1], v[2:3], off offset:4 sc0
	s_waitcnt vmcnt(0)
	v_cmp_eq_u32_e32 vcc, v3, v2
	s_or_b64 s[0:1], vcc, s[0:1]
	v_mov_b32_e32 v3, v2
	s_andn2_b64 exec, exec, s[0:1]
	s_cbranch_execnz .LBB22_19
.LBB22_20:
	s_endpgm
	.section	.rodata,"a",@progbits
	.p2align	6, 0x0
	.amdhsa_kernel _ZN4vllm4gptq33gemm_half_q_half_gptq_8bit_kernelILb1ELi2EEEvPK6__halfPKjS6_S4_PS2_iiiibPKi
		.amdhsa_group_segment_fixed_size 512
		.amdhsa_private_segment_fixed_size 0
		.amdhsa_kernarg_size 72
		.amdhsa_user_sgpr_count 2
		.amdhsa_user_sgpr_dispatch_ptr 0
		.amdhsa_user_sgpr_queue_ptr 0
		.amdhsa_user_sgpr_kernarg_segment_ptr 1
		.amdhsa_user_sgpr_dispatch_id 0
		.amdhsa_user_sgpr_kernarg_preload_length 0
		.amdhsa_user_sgpr_kernarg_preload_offset 0
		.amdhsa_user_sgpr_private_segment_size 0
		.amdhsa_uses_dynamic_stack 0
		.amdhsa_enable_private_segment 0
		.amdhsa_system_sgpr_workgroup_id_x 1
		.amdhsa_system_sgpr_workgroup_id_y 1
		.amdhsa_system_sgpr_workgroup_id_z 1
		.amdhsa_system_sgpr_workgroup_info 0
		.amdhsa_system_vgpr_workitem_id 0
		.amdhsa_next_free_vgpr 78
		.amdhsa_next_free_sgpr 28
		.amdhsa_accum_offset 80
		.amdhsa_reserve_vcc 1
		.amdhsa_float_round_mode_32 0
		.amdhsa_float_round_mode_16_64 0
		.amdhsa_float_denorm_mode_32 3
		.amdhsa_float_denorm_mode_16_64 3
		.amdhsa_dx10_clamp 1
		.amdhsa_ieee_mode 1
		.amdhsa_fp16_overflow 0
		.amdhsa_tg_split 0
		.amdhsa_exception_fp_ieee_invalid_op 0
		.amdhsa_exception_fp_denorm_src 0
		.amdhsa_exception_fp_ieee_div_zero 0
		.amdhsa_exception_fp_ieee_overflow 0
		.amdhsa_exception_fp_ieee_underflow 0
		.amdhsa_exception_fp_ieee_inexact 0
		.amdhsa_exception_int_div_zero 0
	.end_amdhsa_kernel
	.section	.text._ZN4vllm4gptq33gemm_half_q_half_gptq_8bit_kernelILb1ELi2EEEvPK6__halfPKjS6_S4_PS2_iiiibPKi,"axG",@progbits,_ZN4vllm4gptq33gemm_half_q_half_gptq_8bit_kernelILb1ELi2EEEvPK6__halfPKjS6_S4_PS2_iiiibPKi,comdat
.Lfunc_end22:
	.size	_ZN4vllm4gptq33gemm_half_q_half_gptq_8bit_kernelILb1ELi2EEEvPK6__halfPKjS6_S4_PS2_iiiibPKi, .Lfunc_end22-_ZN4vllm4gptq33gemm_half_q_half_gptq_8bit_kernelILb1ELi2EEEvPK6__halfPKjS6_S4_PS2_iiiibPKi
                                        ; -- End function
	.set _ZN4vllm4gptq33gemm_half_q_half_gptq_8bit_kernelILb1ELi2EEEvPK6__halfPKjS6_S4_PS2_iiiibPKi.num_vgpr, 78
	.set _ZN4vllm4gptq33gemm_half_q_half_gptq_8bit_kernelILb1ELi2EEEvPK6__halfPKjS6_S4_PS2_iiiibPKi.num_agpr, 0
	.set _ZN4vllm4gptq33gemm_half_q_half_gptq_8bit_kernelILb1ELi2EEEvPK6__halfPKjS6_S4_PS2_iiiibPKi.numbered_sgpr, 28
	.set _ZN4vllm4gptq33gemm_half_q_half_gptq_8bit_kernelILb1ELi2EEEvPK6__halfPKjS6_S4_PS2_iiiibPKi.num_named_barrier, 0
	.set _ZN4vllm4gptq33gemm_half_q_half_gptq_8bit_kernelILb1ELi2EEEvPK6__halfPKjS6_S4_PS2_iiiibPKi.private_seg_size, 0
	.set _ZN4vllm4gptq33gemm_half_q_half_gptq_8bit_kernelILb1ELi2EEEvPK6__halfPKjS6_S4_PS2_iiiibPKi.uses_vcc, 1
	.set _ZN4vllm4gptq33gemm_half_q_half_gptq_8bit_kernelILb1ELi2EEEvPK6__halfPKjS6_S4_PS2_iiiibPKi.uses_flat_scratch, 0
	.set _ZN4vllm4gptq33gemm_half_q_half_gptq_8bit_kernelILb1ELi2EEEvPK6__halfPKjS6_S4_PS2_iiiibPKi.has_dyn_sized_stack, 0
	.set _ZN4vllm4gptq33gemm_half_q_half_gptq_8bit_kernelILb1ELi2EEEvPK6__halfPKjS6_S4_PS2_iiiibPKi.has_recursion, 0
	.set _ZN4vllm4gptq33gemm_half_q_half_gptq_8bit_kernelILb1ELi2EEEvPK6__halfPKjS6_S4_PS2_iiiibPKi.has_indirect_call, 0
	.section	.AMDGPU.csdata,"",@progbits
; Kernel info:
; codeLenInByte = 6120
; TotalNumSgprs: 34
; NumVgprs: 78
; NumAgprs: 0
; TotalNumVgprs: 78
; ScratchSize: 0
; MemoryBound: 0
; FloatMode: 240
; IeeeMode: 1
; LDSByteSize: 512 bytes/workgroup (compile time only)
; SGPRBlocks: 4
; VGPRBlocks: 9
; NumSGPRsForWavesPerEU: 34
; NumVGPRsForWavesPerEU: 78
; AccumOffset: 80
; Occupancy: 6
; WaveLimiterHint : 0
; COMPUTE_PGM_RSRC2:SCRATCH_EN: 0
; COMPUTE_PGM_RSRC2:USER_SGPR: 2
; COMPUTE_PGM_RSRC2:TRAP_HANDLER: 0
; COMPUTE_PGM_RSRC2:TGID_X_EN: 1
; COMPUTE_PGM_RSRC2:TGID_Y_EN: 1
; COMPUTE_PGM_RSRC2:TGID_Z_EN: 1
; COMPUTE_PGM_RSRC2:TIDIG_COMP_CNT: 0
; COMPUTE_PGM_RSRC3_GFX90A:ACCUM_OFFSET: 19
; COMPUTE_PGM_RSRC3_GFX90A:TG_SPLIT: 0
	.section	.text._ZN4vllm4gptq33gemm_half_q_half_gptq_2bit_kernelILb1ELi3EEEvPK6__halfPKjS6_S4_PS2_iiiibPKi,"axG",@progbits,_ZN4vllm4gptq33gemm_half_q_half_gptq_2bit_kernelILb1ELi3EEEvPK6__halfPKjS6_S4_PS2_iiiibPKi,comdat
	.protected	_ZN4vllm4gptq33gemm_half_q_half_gptq_2bit_kernelILb1ELi3EEEvPK6__halfPKjS6_S4_PS2_iiiibPKi ; -- Begin function _ZN4vllm4gptq33gemm_half_q_half_gptq_2bit_kernelILb1ELi3EEEvPK6__halfPKjS6_S4_PS2_iiiibPKi
	.globl	_ZN4vllm4gptq33gemm_half_q_half_gptq_2bit_kernelILb1ELi3EEEvPK6__halfPKjS6_S4_PS2_iiiibPKi
	.p2align	8
	.type	_ZN4vllm4gptq33gemm_half_q_half_gptq_2bit_kernelILb1ELi3EEEvPK6__halfPKjS6_S4_PS2_iiiibPKi,@function
_ZN4vllm4gptq33gemm_half_q_half_gptq_2bit_kernelILb1ELi3EEEvPK6__halfPKjS6_S4_PS2_iiiibPKi: ; @_ZN4vllm4gptq33gemm_half_q_half_gptq_2bit_kernelILb1ELi3EEEvPK6__halfPKjS6_S4_PS2_iiiibPKi
; %bb.0:
	s_load_dwordx8 s[8:15], s[0:1], 0x8
	s_load_dwordx4 s[16:19], s[0:1], 0x2c
	s_lshl_b32 s24, s4, 7
	s_add_i32 s4, s24, 0x80
	v_cvt_f64_u32_e32 v[2:3], s4
	s_mul_i32 s3, s3, 3
	s_waitcnt lgkmcnt(0)
	v_cvt_f64_i32_e32 v[4:5], s17
	v_min_f64 v[2:3], v[2:3], v[4:5]
	v_cvt_i32_f64_e32 v1, v[2:3]
	v_add_u32_e32 v2, s24, v0
	v_readfirstlane_b32 s25, v1
	v_cmp_lt_u32_e32 vcc, v2, v1
	s_and_saveexec_b64 s[4:5], vcc
	s_cbranch_execz .LBB23_8
; %bb.1:
	s_load_dwordx2 s[22:23], s[0:1], 0x40
	s_load_dwordx2 s[6:7], s[0:1], 0x0
	v_mov_b32_e32 v3, 0
	v_mov_b64_e32 v[6:7], v[2:3]
	s_waitcnt lgkmcnt(0)
	s_cmp_lg_u64 s[22:23], 0
	s_cselect_b64 s[20:21], -1, 0
	s_cmp_eq_u64 s[22:23], 0
	v_lshl_add_u64 v[4:5], v[2:3], 2, s[22:23]
	s_cbranch_scc1 .LBB23_3
; %bb.2:
	global_load_dword v6, v[4:5], off
	s_waitcnt vmcnt(0)
	v_ashrrev_i32_e32 v7, 31, v6
.LBB23_3:
	s_mul_i32 s22, s3, s17
	s_ashr_i32 s23, s22, 31
	s_lshl_b64 s[0:1], s[22:23], 1
	s_add_u32 s0, s6, s0
	s_addc_u32 s1, s7, s1
	v_lshl_add_u64 v[6:7], v[6:7], 1, s[0:1]
	global_load_ushort v6, v[6:7], off
	v_lshlrev_b32_e32 v1, 1, v0
	v_cndmask_b32_e64 v7, 0, 1, s[20:21]
	v_cmp_ne_u32_e64 s[0:1], 1, v7
	s_andn2_b64 vcc, exec, s[20:21]
	s_waitcnt vmcnt(0)
	ds_write_b16 v1, v6
	v_mov_b64_e32 v[6:7], v[2:3]
	s_cbranch_vccnz .LBB23_5
; %bb.4:
	global_load_dword v6, v[4:5], off
	s_waitcnt vmcnt(0)
	v_ashrrev_i32_e32 v7, 31, v6
.LBB23_5:
	s_add_i32 s20, s22, s17
	s_ashr_i32 s21, s20, 31
	s_lshl_b64 s[22:23], s[20:21], 1
	s_add_u32 s22, s6, s22
	s_addc_u32 s23, s7, s23
	v_lshl_add_u64 v[6:7], v[6:7], 1, s[22:23]
	global_load_ushort v6, v[6:7], off
	s_and_b64 vcc, exec, s[0:1]
	s_waitcnt vmcnt(0)
	ds_write_b16 v1, v6 offset:256
	s_cbranch_vccnz .LBB23_7
; %bb.6:
	global_load_dword v2, v[4:5], off
	s_waitcnt vmcnt(0)
	v_ashrrev_i32_e32 v3, 31, v2
.LBB23_7:
	s_add_i32 s0, s20, s17
	s_ashr_i32 s1, s0, 31
	s_lshl_b64 s[0:1], s[0:1], 1
	s_add_u32 s0, s6, s0
	s_addc_u32 s1, s7, s1
	v_lshl_add_u64 v[2:3], v[2:3], 1, s[0:1]
	global_load_ushort v2, v[2:3], off
	s_waitcnt vmcnt(0)
	ds_write_b16 v1, v2 offset:512
.LBB23_8:
	s_or_b64 exec, exec, s[4:5]
	v_lshlrev_b32_e32 v1, 2, v0
	v_lshl_add_u32 v4, s2, 9, v1
	v_cmp_gt_i32_e32 vcc, s16, v4
	s_and_saveexec_b64 s[0:1], vcc
	s_cbranch_execz .LBB23_26
; %bb.9:
	s_abs_i32 s0, s18
	v_cvt_f32_u32_e32 v1, s0
	s_mov_b32 s2, 0
	v_mov_b32_e32 v16, 0
	v_mov_b32_e32 v15, 0
	v_rcp_iflag_f32_e32 v1, v1
	v_mov_b32_e32 v13, 0
	v_mov_b32_e32 v12, 0
	s_cmp_ge_i32 s24, s25
	v_mul_f32_e32 v1, 0x4f7ffffe, v1
	v_cvt_u32_f32_e32 v1, v1
	v_mov_b32_e32 v11, 0
	v_mov_b32_e32 v10, 0
	s_waitcnt lgkmcnt(0)
	v_readfirstlane_b32 s1, v1
	s_barrier
	s_cbranch_scc1 .LBB23_14
; %bb.10:
	s_sub_i32 s7, 0, s0
	s_mul_i32 s7, s7, s1
	s_mul_hi_u32 s7, s1, s7
	s_abs_i32 s6, s17
	s_add_i32 s1, s1, s7
	s_ashr_i32 s4, s17, 31
	s_ashr_i32 s5, s18, 31
	s_mul_hi_u32 s1, s6, s1
	s_xor_b32 s4, s4, s5
	s_mul_i32 s5, s1, s0
	s_sub_i32 s5, s6, s5
	s_add_i32 s6, s1, 1
	s_sub_i32 s7, s5, s0
	s_cmp_ge_u32 s5, s0
	s_cselect_b32 s1, s6, s1
	s_cselect_b32 s5, s7, s5
	s_add_i32 s6, s1, 1
	s_cmp_ge_u32 s5, s0
	s_cselect_b32 s0, s6, s1
	s_xor_b32 s0, s0, s4
	s_sub_i32 s4, s0, s4
	v_cvt_f32_u32_e32 v1, s4
	s_bitcmp1_b32 s19, 0
	s_cselect_b64 s[0:1], -1, 0
	s_sub_i32 s5, 0, s4
	v_rcp_iflag_f32_e32 v1, v1
	s_xor_b64 s[0:1], s[0:1], -1
	v_ashrrev_i32_e32 v5, 31, v4
	v_lshrrev_b32_e32 v2, 28, v5
	v_mul_f32_e32 v1, 0x4f7ffffe, v1
	v_cvt_u32_f32_e32 v1, v1
	v_add_u32_e32 v2, v4, v2
	v_ashrrev_i32_e32 v14, 4, v2
	v_cndmask_b32_e64 v19, 0, 1, s[0:1]
	v_readfirstlane_b32 s6, v1
	s_mul_i32 s5, s5, s6
	s_mul_hi_u32 s5, s6, s5
	s_add_i32 s6, s6, s5
	s_mul_hi_u32 s5, s24, s6
	s_mul_i32 s6, s5, s4
	s_sub_i32 s6, s24, s6
	s_add_i32 s7, s5, 1
	s_sub_i32 s17, s6, s4
	s_cmp_ge_u32 s6, s4
	s_cselect_b32 s5, s7, s5
	s_cselect_b32 s6, s17, s6
	s_add_i32 s7, s5, 1
	s_cmp_ge_u32 s6, s4
	s_cselect_b32 s5, s7, s5
	s_mul_i32 s6, s5, s16
	s_ashr_i32 s7, s6, 31
	s_lshr_b32 s7, s7, 28
	s_add_i32 s7, s6, s7
	s_ashr_i32 s7, s7, 4
	v_add_u32_e32 v2, s7, v14
	v_ashrrev_i32_e32 v3, 31, v2
	v_lshl_add_u64 v[2:3], v[2:3], 2, s[10:11]
	global_load_dword v16, v[2:3], off
	v_add_u32_e32 v2, s6, v4
	v_ashrrev_i32_e32 v3, 31, v2
	v_lshl_add_u64 v[2:3], v[2:3], 1, s[12:13]
	global_load_dwordx2 v[6:7], v[2:3], off
	s_lshr_b32 s0, s24, 4
	s_mul_i32 s0, s16, s0
	s_ashr_i32 s1, s0, 31
	s_add_i32 s21, s4, s24
	s_ashr_i32 s17, s16, 31
	s_lshl_b64 s[0:1], s[0:1], 2
	s_add_u32 s8, s8, s0
	s_addc_u32 s9, s9, s1
	v_lshlrev_b32_e32 v2, 3, v0
	v_lshl_add_u64 v[0:1], v[4:5], 2, s[8:9]
	v_and_b32_e32 v18, 24, v2
	v_lshl_add_u64 v[8:9], v[0:1], 0, 8
	v_mov_b32_e32 v10, 0
	s_mov_b32 s6, 0x10001
	v_mov_b32_e32 v17, 0xe400e400
	s_movk_i32 s7, 0x3400
	s_movk_i32 s18, 0x2c00
	;; [unrolled: 1-line block ×3, first 2 shown]
	s_mov_b32 s20, 0x7060302
	v_mov_b32_e32 v11, 0
	v_mov_b32_e32 v12, 0
	;; [unrolled: 1-line block ×4, first 2 shown]
	s_lshl_b64 s[0:1], s[16:17], 2
	s_waitcnt vmcnt(1)
	v_lshrrev_b32_e32 v0, v2, v16
	v_bfe_u32 v5, v16, v18, 2
	v_bfe_u32 v20, v0, 2, 2
	v_bfe_u32 v21, v0, 4, 2
	v_bfe_u32 v22, v0, 6, 2
	v_mov_b32_e32 v16, 0
	s_branch .LBB23_12
.LBB23_11:                              ;   in Loop: Header=BB23_12 Depth=1
	global_load_dwordx4 v[0:3], v[8:9], off offset:-8
	v_add_u32_e32 v24, v5, v19
	v_add_u32_e32 v25, v20, v19
	;; [unrolled: 1-line block ×4, first 2 shown]
	v_cvt_f32_i32_e32 v30, v24
	v_cvt_f32_i32_e32 v31, v25
	;; [unrolled: 1-line block ×4, first 2 shown]
	v_cvt_f16_f32_e32 v30, v30
	v_cvt_f16_f32_e32 v31, v31
	;; [unrolled: 1-line block ×3, first 2 shown]
	v_mov_b32_e32 v23, s2
	v_cvt_f16_f32_e32 v32, v32
	ds_read2_b32 v[28:29], v23 offset1:1
	v_and_b32_e32 v24, 0x1bff, v24
	v_and_b32_e32 v25, 0x1bff, v25
	;; [unrolled: 1-line block ×4, first 2 shown]
	v_mad_u32_u24 v34, v24, s6, v17
	v_mad_u32_u24 v35, v25, s6, v17
	;; [unrolled: 1-line block ×3, first 2 shown]
	v_sub_f16_e32 v24, 0xdc00, v30
	v_sub_f16_e32 v25, 0xdc00, v31
	v_mad_u32_u24 v36, v26, s6, v17
	v_sub_f16_e32 v26, 0xdc00, v32
	v_mul_u32_u24_e32 v54, 0x10001, v24
	v_mul_u32_u24_e32 v55, 0x10001, v25
	;; [unrolled: 1-line block ×3, first 2 shown]
	s_add_i32 s24, s24, 16
	s_add_i32 s2, s2, 32
	s_cmp_ge_i32 s24, s25
	v_lshl_add_u64 v[8:9], v[8:9], 0, s[0:1]
	s_waitcnt vmcnt(0)
	v_and_b32_e32 v27, 0x30003, v0
	v_and_b32_e32 v38, 0xc000c, v0
	v_and_b32_e32 v39, 0x300030, v0
	v_and_b32_e32 v40, 0xc000c0, v0
	v_lshrrev_b32_e32 v41, 8, v0
	v_and_b32_e32 v0, 0x30003, v1
	v_and_b32_e32 v42, 0xc000c, v1
	v_and_b32_e32 v43, 0x300030, v1
	v_and_b32_e32 v44, 0xc000c0, v1
	v_lshrrev_b32_e32 v45, 8, v1
	;; [unrolled: 5-line block ×4, first 2 shown]
	v_sub_f16_e32 v3, 0xdc00, v33
	v_mul_u32_u24_e32 v57, 0x10001, v3
	v_or_b32_e32 v3, 0x64006400, v27
	v_or_b32_e32 v24, 0x64006400, v38
	;; [unrolled: 1-line block ×8, first 2 shown]
	v_pk_add_f16 v26, v34, v3
	v_pk_fma_f16 v27, v24, s7, v54 op_sel_hi:[1,0,1]
	v_pk_add_f16 v24, v35, v0
	v_pk_add_f16 v2, v36, v1
	;; [unrolled: 1-line block ×3, first 2 shown]
	v_pk_fma_f16 v3, v38, s7, v56 op_sel_hi:[1,0,1]
	v_pk_fma_f16 v1, v46, s7, v57 op_sel_hi:[1,0,1]
	s_waitcnt lgkmcnt(0)
	v_pk_fma_f16 v38, v26, v28, 0
	v_pk_fma_f16 v42, v24, v28, 0
	;; [unrolled: 1-line block ×4, first 2 shown]
	v_pk_fma_f16 v25, v25, s7, v55 op_sel_hi:[1,0,1]
	v_pk_fma_f16 v50, v1, v29, v28
	v_sub_f16_e32 v28, 0xd400, v30
	v_pk_fma_f16 v38, v27, v29, v38
	v_pk_fma_f16 v42, v25, v29, v42
	;; [unrolled: 1-line block ×3, first 2 shown]
	v_sub_f16_e32 v29, 0xcc00, v30
	v_mul_u32_u24_e32 v30, 0x10001, v28
	v_sub_f16_e32 v28, 0xd400, v31
	v_mul_u32_u24_e32 v59, 0x10001, v28
	v_or_b32_e32 v28, 0x64006400, v39
	v_pk_fma_f16 v39, v28, s18, v30 op_sel_hi:[1,0,1]
	v_or_b32_e32 v28, 0x64006400, v43
	v_pk_fma_f16 v43, v28, s18, v59 op_sel_hi:[1,0,1]
	v_sub_f16_e32 v28, 0xcc00, v31
	v_mul_u32_u24_e32 v31, 0x10001, v28
	v_or_b32_e32 v28, 0x64006400, v44
	v_pk_fma_f16 v44, v28, s19, v31 op_sel_hi:[1,0,1]
	v_sub_f16_e32 v28, 0xd400, v32
	v_mul_u32_u24_e32 v60, 0x10001, v28
	;; [unrolled: 4-line block ×5, first 2 shown]
	v_or_b32_e32 v29, 0x64006400, v40
	v_mul_u32_u24_e32 v33, 0x10001, v28
	v_or_b32_e32 v28, 0x64006400, v52
	v_pk_fma_f16 v40, v29, s19, v58 op_sel_hi:[1,0,1]
	v_pk_fma_f16 v52, v28, s19, v33 op_sel_hi:[1,0,1]
	ds_read2_b32 v[28:29], v23 offset0:2 offset1:3
	s_waitcnt lgkmcnt(0)
	v_pk_fma_f16 v38, v39, v28, v38
	v_pk_fma_f16 v42, v43, v28, v42
	;; [unrolled: 1-line block ×6, first 2 shown]
	v_and_b32_e32 v28, 0x30003, v41
	v_or_b32_e32 v28, 0x64006400, v28
	v_pk_add_f16 v34, v34, v28
	v_and_b32_e32 v28, 0xc000c, v41
	v_or_b32_e32 v28, 0x64006400, v28
	v_pk_fma_f16 v54, v28, s7, v54 op_sel_hi:[1,0,1]
	v_and_b32_e32 v28, 0x30003, v45
	v_or_b32_e32 v28, 0x64006400, v28
	v_pk_add_f16 v35, v35, v28
	v_and_b32_e32 v28, 0xc000c, v45
	v_or_b32_e32 v28, 0x64006400, v28
	v_pk_fma_f16 v55, v28, s7, v55 op_sel_hi:[1,0,1]
	;; [unrolled: 6-line block ×3, first 2 shown]
	v_and_b32_e32 v28, 0x30003, v53
	v_or_b32_e32 v28, 0x64006400, v28
	v_pk_add_f16 v37, v37, v28
	v_and_b32_e32 v28, 0xc000c, v53
	v_or_b32_e32 v28, 0x64006400, v28
	v_pk_fma_f16 v42, v44, v29, v42
	v_pk_fma_f16 v46, v48, v29, v46
	v_pk_fma_f16 v57, v28, s7, v57 op_sel_hi:[1,0,1]
	ds_read2_b32 v[28:29], v23 offset0:4 offset1:5
	s_waitcnt lgkmcnt(0)
	v_pk_fma_f16 v38, v34, v28, v38
	v_pk_fma_f16 v42, v35, v28, v42
	;; [unrolled: 1-line block ×6, first 2 shown]
	v_and_b32_e32 v28, 0x300030, v41
	v_or_b32_e32 v28, 0x64006400, v28
	v_pk_fma_f16 v62, v28, s18, v30 op_sel_hi:[1,0,1]
	v_and_b32_e32 v28, 0xc000c0, v41
	v_or_b32_e32 v28, 0x64006400, v28
	v_pk_fma_f16 v41, v28, s19, v58 op_sel_hi:[1,0,1]
	;; [unrolled: 3-line block ×7, first 2 shown]
	v_and_b32_e32 v28, 0xc000c0, v53
	v_or_b32_e32 v28, 0x64006400, v28
	v_pk_fma_f16 v42, v55, v29, v42
	v_pk_fma_f16 v46, v56, v29, v46
	v_pk_fma_f16 v53, v28, s19, v33 op_sel_hi:[1,0,1]
	ds_read2_b32 v[28:29], v23 offset0:6 offset1:7
	s_waitcnt lgkmcnt(0)
	v_pk_fma_f16 v30, v62, v28, v38
	s_nop 0
	v_pk_fma_f16 v38, v41, v29, v30
	v_pk_fma_f16 v30, v58, v28, v42
	s_nop 0
	v_pk_fma_f16 v42, v45, v29, v30
	v_pk_fma_f16 v30, v59, v28, v46
	v_pk_fma_f16 v28, v60, v28, v50
	v_pk_fma_f16 v46, v49, v29, v30
	v_pk_fma_f16 v50, v53, v29, v28
	ds_read2_b32 v[28:29], v23 offset0:64 offset1:65
	s_waitcnt lgkmcnt(0)
	v_pk_fma_f16 v30, v26, v28, 0
	v_pk_fma_f16 v31, v24, v28, 0
	v_pk_fma_f16 v32, v2, v28, 0
	v_pk_fma_f16 v28, v0, v28, 0
	v_pk_fma_f16 v30, v27, v29, v30
	v_pk_fma_f16 v31, v25, v29, v31
	v_pk_fma_f16 v32, v3, v29, v32
	v_pk_fma_f16 v33, v1, v29, v28
	ds_read2_b32 v[28:29], v23 offset0:66 offset1:67
	s_waitcnt lgkmcnt(0)
	v_pk_fma_f16 v30, v39, v28, v30
	v_pk_fma_f16 v31, v43, v28, v31
	v_pk_fma_f16 v32, v47, v28, v32
	v_pk_fma_f16 v28, v51, v28, v33
	v_pk_fma_f16 v30, v40, v29, v30
	v_pk_fma_f16 v31, v44, v29, v31
	v_pk_fma_f16 v32, v48, v29, v32
	v_pk_fma_f16 v33, v52, v29, v28
	ds_read2_b32 v[28:29], v23 offset0:68 offset1:69
	s_waitcnt lgkmcnt(0)
	v_pk_fma_f16 v30, v34, v28, v30
	v_pk_fma_f16 v31, v35, v28, v31
	v_pk_fma_f16 v32, v36, v28, v32
	v_pk_fma_f16 v28, v37, v28, v33
	v_pk_fma_f16 v30, v54, v29, v30
	;; [unrolled: 1-line block ×5, first 2 shown]
	ds_read2_b32 v[28:29], v23 offset0:70 offset1:71
	s_waitcnt lgkmcnt(0)
	v_pk_fma_f16 v30, v62, v28, v30
	s_nop 0
	v_pk_fma_f16 v61, v41, v29, v30
	v_pk_fma_f16 v30, v58, v28, v31
	s_nop 0
	v_pk_fma_f16 v63, v45, v29, v30
	v_pk_fma_f16 v30, v59, v28, v32
	;; [unrolled: 1-line block ×5, first 2 shown]
	ds_read2_b32 v[28:29], v23 offset0:128 offset1:129
	s_waitcnt lgkmcnt(0)
	v_pk_fma_f16 v26, v26, v28, 0
	s_nop 0
	v_pk_fma_f16 v30, v27, v29, v26
	ds_read2_b32 v[26:27], v23 offset0:130 offset1:131
	v_pk_fma_f16 v24, v24, v28, 0
	v_pk_fma_f16 v2, v2, v28, 0
	;; [unrolled: 1-line block ×4, first 2 shown]
	s_waitcnt lgkmcnt(0)
	v_pk_fma_f16 v30, v39, v26, v30
	v_pk_fma_f16 v2, v3, v29, v2
	;; [unrolled: 1-line block ×3, first 2 shown]
	ds_read2_b32 v[30:31], v23 offset0:132 offset1:133
	v_pk_fma_f16 v0, v1, v29, v0
	v_pk_fma_f16 v24, v43, v26, v24
	;; [unrolled: 1-line block ×4, first 2 shown]
	s_waitcnt lgkmcnt(0)
	v_pk_fma_f16 v32, v34, v30, v32
	v_pk_fma_f16 v24, v44, v27, v24
	;; [unrolled: 1-line block ×3, first 2 shown]
	ds_read2_b32 v[32:33], v23 offset0:134 offset1:135
	v_pk_fma_f16 v2, v48, v27, v2
	v_pk_fma_f16 v0, v52, v27, v0
	;; [unrolled: 1-line block ×3, first 2 shown]
	v_pack_b32_f16 v25, v38, v42
	s_waitcnt lgkmcnt(0)
	v_pk_fma_f16 v23, v62, v32, v34
	v_perm_b32 v34, v42, v38, s20
	v_pk_fma_f16 v2, v36, v30, v2
	v_pk_fma_f16 v0, v37, v30, v0
	v_pack_b32_f16 v1, v46, v50
	v_perm_b32 v3, v50, v46, s20
	v_pk_fma_f16 v24, v55, v31, v24
	v_pk_add_f16 v25, v25, v34
	v_pk_fma_f16 v2, v56, v31, v2
	v_pk_fma_f16 v0, v57, v31, v0
	v_pk_add_f16 v1, v1, v3
	v_pk_fma_f16 v24, v58, v32, v24
	v_pk_fma_f16 v16, v25, v6, v16
	v_pack_b32_f16 v25, v61, v63
	v_perm_b32 v34, v63, v61, s20
	v_pk_fma_f16 v2, v59, v32, v2
	v_pk_fma_f16 v0, v60, v32, v0
	v_pk_fma_f16 v15, v1, v7, v15
	v_pack_b32_f16 v1, v64, v65
	v_perm_b32 v3, v65, v64, s20
	v_pk_fma_f16 v23, v41, v33, v23
	v_pk_fma_f16 v24, v45, v33, v24
	v_pk_add_f16 v25, v25, v34
	v_pk_fma_f16 v2, v49, v33, v2
	v_pk_fma_f16 v0, v53, v33, v0
	v_pk_add_f16 v1, v1, v3
	v_pk_fma_f16 v13, v25, v6, v13
	v_pack_b32_f16 v25, v23, v24
	v_perm_b32 v23, v24, v23, s20
	v_pk_fma_f16 v12, v1, v7, v12
	v_pack_b32_f16 v1, v2, v0
	v_perm_b32 v0, v0, v2, s20
	v_pk_add_f16 v23, v25, v23
	v_pk_add_f16 v0, v1, v0
	v_pk_fma_f16 v11, v23, v6, v11
	v_pk_fma_f16 v10, v0, v7, v10
	s_cbranch_scc1 .LBB23_14
.LBB23_12:                              ; =>This Inner Loop Header: Depth=1
	s_cmp_lg_u32 s24, s21
	s_cbranch_scc1 .LBB23_11
; %bb.13:                               ;   in Loop: Header=BB23_12 Depth=1
	s_add_i32 s5, s5, 1
	s_mul_i32 s8, s5, s16
	s_ashr_i32 s9, s8, 31
	s_lshr_b32 s9, s9, 28
	s_add_i32 s9, s8, s9
	s_ashr_i32 s9, s9, 4
	v_add_u32_e32 v0, s9, v14
	v_ashrrev_i32_e32 v1, 31, v0
	v_lshl_add_u64 v[0:1], v[0:1], 2, s[10:11]
	global_load_dword v2, v[0:1], off
	v_add_u32_e32 v0, s8, v4
	v_ashrrev_i32_e32 v1, 31, v0
	v_lshl_add_u64 v[0:1], v[0:1], 1, s[12:13]
	global_load_dwordx2 v[6:7], v[0:1], off
	s_add_i32 s21, s21, s4
	s_waitcnt vmcnt(1)
	v_lshrrev_b32_e32 v0, v18, v2
	v_bfe_u32 v5, v2, v18, 2
	v_bfe_u32 v20, v0, 2, 2
	;; [unrolled: 1-line block ×4, first 2 shown]
	s_branch .LBB23_11
.LBB23_14:
	s_mul_i32 s3, s3, s16
	v_add_u32_e32 v0, s3, v4
	v_ashrrev_i32_e32 v1, 31, v0
	v_lshl_add_u64 v[2:3], v[0:1], 1, s[14:15]
	global_load_dword v5, v[2:3], off
	s_mov_b64 s[0:1], 0
.LBB23_15:                              ; =>This Inner Loop Header: Depth=1
	s_waitcnt vmcnt(0)
	v_pk_add_f16 v4, v16, v5
	global_atomic_cmpswap v1, v[2:3], v[4:5], off sc0
	s_waitcnt vmcnt(0)
	v_cmp_eq_u32_e32 vcc, v5, v1
	s_or_b64 s[0:1], vcc, s[0:1]
	v_mov_b32_e32 v5, v1
	s_andn2_b64 exec, exec, s[0:1]
	s_cbranch_execnz .LBB23_15
; %bb.16:
	s_or_b64 exec, exec, s[0:1]
	global_load_dword v5, v[2:3], off offset:4
	s_mov_b64 s[0:1], 0
.LBB23_17:                              ; =>This Inner Loop Header: Depth=1
	s_waitcnt vmcnt(0)
	v_pk_add_f16 v4, v15, v5
	global_atomic_cmpswap v1, v[2:3], v[4:5], off offset:4 sc0
	s_waitcnt vmcnt(0)
	v_cmp_eq_u32_e32 vcc, v5, v1
	s_or_b64 s[0:1], vcc, s[0:1]
	v_mov_b32_e32 v5, v1
	s_andn2_b64 exec, exec, s[0:1]
	s_cbranch_execnz .LBB23_17
; %bb.18:
	s_or_b64 exec, exec, s[0:1]
	v_add_u32_e32 v0, s16, v0
	v_ashrrev_i32_e32 v1, 31, v0
	v_lshl_add_u64 v[2:3], v[0:1], 1, s[14:15]
	global_load_dword v5, v[2:3], off
	s_mov_b64 s[0:1], 0
.LBB23_19:                              ; =>This Inner Loop Header: Depth=1
	s_waitcnt vmcnt(0)
	v_pk_add_f16 v4, v13, v5
	global_atomic_cmpswap v1, v[2:3], v[4:5], off sc0
	s_waitcnt vmcnt(0)
	v_cmp_eq_u32_e32 vcc, v5, v1
	s_or_b64 s[0:1], vcc, s[0:1]
	v_mov_b32_e32 v5, v1
	s_andn2_b64 exec, exec, s[0:1]
	s_cbranch_execnz .LBB23_19
; %bb.20:
	s_or_b64 exec, exec, s[0:1]
	global_load_dword v5, v[2:3], off offset:4
	s_mov_b64 s[0:1], 0
.LBB23_21:                              ; =>This Inner Loop Header: Depth=1
	s_waitcnt vmcnt(0)
	v_pk_add_f16 v4, v12, v5
	global_atomic_cmpswap v1, v[2:3], v[4:5], off offset:4 sc0
	s_waitcnt vmcnt(0)
	v_cmp_eq_u32_e32 vcc, v5, v1
	s_or_b64 s[0:1], vcc, s[0:1]
	v_mov_b32_e32 v5, v1
	s_andn2_b64 exec, exec, s[0:1]
	s_cbranch_execnz .LBB23_21
; %bb.22:
	s_or_b64 exec, exec, s[0:1]
	v_add_u32_e32 v0, s16, v0
	v_ashrrev_i32_e32 v1, 31, v0
	v_lshl_add_u64 v[0:1], v[0:1], 1, s[14:15]
	global_load_dword v3, v[0:1], off
	s_mov_b64 s[0:1], 0
.LBB23_23:                              ; =>This Inner Loop Header: Depth=1
	s_waitcnt vmcnt(0)
	v_pk_add_f16 v2, v11, v3
	global_atomic_cmpswap v2, v[0:1], v[2:3], off sc0
	s_waitcnt vmcnt(0)
	v_cmp_eq_u32_e32 vcc, v3, v2
	s_or_b64 s[0:1], vcc, s[0:1]
	v_mov_b32_e32 v3, v2
	s_andn2_b64 exec, exec, s[0:1]
	s_cbranch_execnz .LBB23_23
; %bb.24:
	s_or_b64 exec, exec, s[0:1]
	global_load_dword v3, v[0:1], off offset:4
	s_mov_b64 s[0:1], 0
.LBB23_25:                              ; =>This Inner Loop Header: Depth=1
	s_waitcnt vmcnt(0)
	v_pk_add_f16 v2, v10, v3
	global_atomic_cmpswap v2, v[0:1], v[2:3], off offset:4 sc0
	s_waitcnt vmcnt(0)
	v_cmp_eq_u32_e32 vcc, v3, v2
	s_or_b64 s[0:1], vcc, s[0:1]
	v_mov_b32_e32 v3, v2
	s_andn2_b64 exec, exec, s[0:1]
	s_cbranch_execnz .LBB23_25
.LBB23_26:
	s_endpgm
	.section	.rodata,"a",@progbits
	.p2align	6, 0x0
	.amdhsa_kernel _ZN4vllm4gptq33gemm_half_q_half_gptq_2bit_kernelILb1ELi3EEEvPK6__halfPKjS6_S4_PS2_iiiibPKi
		.amdhsa_group_segment_fixed_size 768
		.amdhsa_private_segment_fixed_size 0
		.amdhsa_kernarg_size 72
		.amdhsa_user_sgpr_count 2
		.amdhsa_user_sgpr_dispatch_ptr 0
		.amdhsa_user_sgpr_queue_ptr 0
		.amdhsa_user_sgpr_kernarg_segment_ptr 1
		.amdhsa_user_sgpr_dispatch_id 0
		.amdhsa_user_sgpr_kernarg_preload_length 0
		.amdhsa_user_sgpr_kernarg_preload_offset 0
		.amdhsa_user_sgpr_private_segment_size 0
		.amdhsa_uses_dynamic_stack 0
		.amdhsa_enable_private_segment 0
		.amdhsa_system_sgpr_workgroup_id_x 1
		.amdhsa_system_sgpr_workgroup_id_y 1
		.amdhsa_system_sgpr_workgroup_id_z 1
		.amdhsa_system_sgpr_workgroup_info 0
		.amdhsa_system_vgpr_workitem_id 0
		.amdhsa_next_free_vgpr 66
		.amdhsa_next_free_sgpr 26
		.amdhsa_accum_offset 68
		.amdhsa_reserve_vcc 1
		.amdhsa_float_round_mode_32 0
		.amdhsa_float_round_mode_16_64 0
		.amdhsa_float_denorm_mode_32 3
		.amdhsa_float_denorm_mode_16_64 3
		.amdhsa_dx10_clamp 1
		.amdhsa_ieee_mode 1
		.amdhsa_fp16_overflow 0
		.amdhsa_tg_split 0
		.amdhsa_exception_fp_ieee_invalid_op 0
		.amdhsa_exception_fp_denorm_src 0
		.amdhsa_exception_fp_ieee_div_zero 0
		.amdhsa_exception_fp_ieee_overflow 0
		.amdhsa_exception_fp_ieee_underflow 0
		.amdhsa_exception_fp_ieee_inexact 0
		.amdhsa_exception_int_div_zero 0
	.end_amdhsa_kernel
	.section	.text._ZN4vllm4gptq33gemm_half_q_half_gptq_2bit_kernelILb1ELi3EEEvPK6__halfPKjS6_S4_PS2_iiiibPKi,"axG",@progbits,_ZN4vllm4gptq33gemm_half_q_half_gptq_2bit_kernelILb1ELi3EEEvPK6__halfPKjS6_S4_PS2_iiiibPKi,comdat
.Lfunc_end23:
	.size	_ZN4vllm4gptq33gemm_half_q_half_gptq_2bit_kernelILb1ELi3EEEvPK6__halfPKjS6_S4_PS2_iiiibPKi, .Lfunc_end23-_ZN4vllm4gptq33gemm_half_q_half_gptq_2bit_kernelILb1ELi3EEEvPK6__halfPKjS6_S4_PS2_iiiibPKi
                                        ; -- End function
	.set _ZN4vllm4gptq33gemm_half_q_half_gptq_2bit_kernelILb1ELi3EEEvPK6__halfPKjS6_S4_PS2_iiiibPKi.num_vgpr, 66
	.set _ZN4vllm4gptq33gemm_half_q_half_gptq_2bit_kernelILb1ELi3EEEvPK6__halfPKjS6_S4_PS2_iiiibPKi.num_agpr, 0
	.set _ZN4vllm4gptq33gemm_half_q_half_gptq_2bit_kernelILb1ELi3EEEvPK6__halfPKjS6_S4_PS2_iiiibPKi.numbered_sgpr, 26
	.set _ZN4vllm4gptq33gemm_half_q_half_gptq_2bit_kernelILb1ELi3EEEvPK6__halfPKjS6_S4_PS2_iiiibPKi.num_named_barrier, 0
	.set _ZN4vllm4gptq33gemm_half_q_half_gptq_2bit_kernelILb1ELi3EEEvPK6__halfPKjS6_S4_PS2_iiiibPKi.private_seg_size, 0
	.set _ZN4vllm4gptq33gemm_half_q_half_gptq_2bit_kernelILb1ELi3EEEvPK6__halfPKjS6_S4_PS2_iiiibPKi.uses_vcc, 1
	.set _ZN4vllm4gptq33gemm_half_q_half_gptq_2bit_kernelILb1ELi3EEEvPK6__halfPKjS6_S4_PS2_iiiibPKi.uses_flat_scratch, 0
	.set _ZN4vllm4gptq33gemm_half_q_half_gptq_2bit_kernelILb1ELi3EEEvPK6__halfPKjS6_S4_PS2_iiiibPKi.has_dyn_sized_stack, 0
	.set _ZN4vllm4gptq33gemm_half_q_half_gptq_2bit_kernelILb1ELi3EEEvPK6__halfPKjS6_S4_PS2_iiiibPKi.has_recursion, 0
	.set _ZN4vllm4gptq33gemm_half_q_half_gptq_2bit_kernelILb1ELi3EEEvPK6__halfPKjS6_S4_PS2_iiiibPKi.has_indirect_call, 0
	.section	.AMDGPU.csdata,"",@progbits
; Kernel info:
; codeLenInByte = 3688
; TotalNumSgprs: 32
; NumVgprs: 66
; NumAgprs: 0
; TotalNumVgprs: 66
; ScratchSize: 0
; MemoryBound: 0
; FloatMode: 240
; IeeeMode: 1
; LDSByteSize: 768 bytes/workgroup (compile time only)
; SGPRBlocks: 3
; VGPRBlocks: 8
; NumSGPRsForWavesPerEU: 32
; NumVGPRsForWavesPerEU: 66
; AccumOffset: 68
; Occupancy: 7
; WaveLimiterHint : 0
; COMPUTE_PGM_RSRC2:SCRATCH_EN: 0
; COMPUTE_PGM_RSRC2:USER_SGPR: 2
; COMPUTE_PGM_RSRC2:TRAP_HANDLER: 0
; COMPUTE_PGM_RSRC2:TGID_X_EN: 1
; COMPUTE_PGM_RSRC2:TGID_Y_EN: 1
; COMPUTE_PGM_RSRC2:TGID_Z_EN: 1
; COMPUTE_PGM_RSRC2:TIDIG_COMP_CNT: 0
; COMPUTE_PGM_RSRC3_GFX90A:ACCUM_OFFSET: 16
; COMPUTE_PGM_RSRC3_GFX90A:TG_SPLIT: 0
	.section	.text._ZN4vllm4gptq33gemm_half_q_half_gptq_3bit_kernelILb1ELi3EEEvPK6__halfPKjS6_S4_PS2_iiiibPKi,"axG",@progbits,_ZN4vllm4gptq33gemm_half_q_half_gptq_3bit_kernelILb1ELi3EEEvPK6__halfPKjS6_S4_PS2_iiiibPKi,comdat
	.protected	_ZN4vllm4gptq33gemm_half_q_half_gptq_3bit_kernelILb1ELi3EEEvPK6__halfPKjS6_S4_PS2_iiiibPKi ; -- Begin function _ZN4vllm4gptq33gemm_half_q_half_gptq_3bit_kernelILb1ELi3EEEvPK6__halfPKjS6_S4_PS2_iiiibPKi
	.globl	_ZN4vllm4gptq33gemm_half_q_half_gptq_3bit_kernelILb1ELi3EEEvPK6__halfPKjS6_S4_PS2_iiiibPKi
	.p2align	8
	.type	_ZN4vllm4gptq33gemm_half_q_half_gptq_3bit_kernelILb1ELi3EEEvPK6__halfPKjS6_S4_PS2_iiiibPKi,@function
_ZN4vllm4gptq33gemm_half_q_half_gptq_3bit_kernelILb1ELi3EEEvPK6__halfPKjS6_S4_PS2_iiiibPKi: ; @_ZN4vllm4gptq33gemm_half_q_half_gptq_3bit_kernelILb1ELi3EEEvPK6__halfPKjS6_S4_PS2_iiiibPKi
; %bb.0:
	s_load_dwordx8 s[8:15], s[0:1], 0x8
	s_load_dwordx4 s[16:19], s[0:1], 0x2c
	s_lshl_b32 s27, s4, 7
	s_mul_i32 s26, s3, 3
	s_add_i32 s3, s27, 0x80
	v_cvt_f64_u32_e32 v[2:3], s3
	s_waitcnt lgkmcnt(0)
	v_cvt_f64_i32_e32 v[4:5], s17
	v_min_f64 v[2:3], v[2:3], v[4:5]
	v_cvt_i32_f64_e32 v1, v[2:3]
	v_add_u32_e32 v2, s27, v0
	v_readfirstlane_b32 s28, v1
	v_cmp_lt_u32_e32 vcc, v2, v1
	s_and_saveexec_b64 s[4:5], vcc
	s_cbranch_execz .LBB24_8
; %bb.1:
	s_load_dwordx2 s[22:23], s[0:1], 0x40
	s_load_dwordx2 s[6:7], s[0:1], 0x0
	v_mov_b32_e32 v3, 0
	v_mov_b64_e32 v[6:7], v[2:3]
	s_waitcnt lgkmcnt(0)
	s_cmp_lg_u64 s[22:23], 0
	s_cselect_b64 s[20:21], -1, 0
	s_cmp_eq_u64 s[22:23], 0
	v_lshl_add_u64 v[4:5], v[2:3], 2, s[22:23]
	s_cbranch_scc1 .LBB24_3
; %bb.2:
	global_load_dword v6, v[4:5], off
	s_waitcnt vmcnt(0)
	v_ashrrev_i32_e32 v7, 31, v6
.LBB24_3:
	s_mul_i32 s22, s26, s17
	s_ashr_i32 s23, s22, 31
	s_lshl_b64 s[0:1], s[22:23], 1
	s_add_u32 s0, s6, s0
	s_addc_u32 s1, s7, s1
	v_lshl_add_u64 v[6:7], v[6:7], 1, s[0:1]
	global_load_ushort v6, v[6:7], off
	v_lshlrev_b32_e32 v1, 1, v0
	v_cndmask_b32_e64 v7, 0, 1, s[20:21]
	v_cmp_ne_u32_e64 s[0:1], 1, v7
	s_andn2_b64 vcc, exec, s[20:21]
	s_waitcnt vmcnt(0)
	ds_write_b16 v1, v6
	v_mov_b64_e32 v[6:7], v[2:3]
	s_cbranch_vccnz .LBB24_5
; %bb.4:
	global_load_dword v6, v[4:5], off
	s_waitcnt vmcnt(0)
	v_ashrrev_i32_e32 v7, 31, v6
.LBB24_5:
	s_add_i32 s20, s22, s17
	s_ashr_i32 s21, s20, 31
	s_lshl_b64 s[22:23], s[20:21], 1
	s_add_u32 s22, s6, s22
	s_addc_u32 s23, s7, s23
	v_lshl_add_u64 v[6:7], v[6:7], 1, s[22:23]
	global_load_ushort v6, v[6:7], off
	s_and_b64 vcc, exec, s[0:1]
	s_waitcnt vmcnt(0)
	ds_write_b16 v1, v6 offset:256
	s_cbranch_vccnz .LBB24_7
; %bb.6:
	global_load_dword v2, v[4:5], off
	s_waitcnt vmcnt(0)
	v_ashrrev_i32_e32 v3, 31, v2
.LBB24_7:
	s_add_i32 s0, s20, s17
	s_ashr_i32 s1, s0, 31
	s_lshl_b64 s[0:1], s[0:1], 1
	s_add_u32 s0, s6, s0
	s_addc_u32 s1, s7, s1
	v_lshl_add_u64 v[2:3], v[2:3], 1, s[0:1]
	global_load_ushort v2, v[2:3], off
	s_waitcnt vmcnt(0)
	ds_write_b16 v1, v2 offset:512
.LBB24_8:
	s_or_b64 exec, exec, s[4:5]
	v_lshlrev_b32_e32 v0, 2, v0
	v_lshl_add_u32 v12, s2, 9, v0
	v_cmp_gt_i32_e32 vcc, s16, v12
	s_and_saveexec_b64 s[0:1], vcc
	s_cbranch_execz .LBB24_58
; %bb.9:
	s_abs_i32 s0, s18
	v_cvt_f32_u32_e32 v1, s0
	s_sub_i32 s3, 0, s0
	s_abs_i32 s2, s17
	s_xor_b32 s1, s17, s18
	v_rcp_iflag_f32_e32 v1, v1
	s_ashr_i32 s1, s1, 31
	v_and_b32_e32 v2, 28, v0
	v_cmp_lt_u32_e32 vcc, 4, v2
	v_mul_f32_e32 v1, 0x4f7ffffe, v1
	v_cvt_u32_f32_e32 v1, v1
	s_waitcnt lgkmcnt(0)
	s_barrier
	v_readfirstlane_b32 s4, v1
	s_mul_i32 s3, s3, s4
	s_mul_hi_u32 s3, s4, s3
	s_add_i32 s4, s4, s3
	s_mul_hi_u32 s3, s2, s4
	s_mul_i32 s4, s3, s0
	s_sub_i32 s2, s2, s4
	s_add_i32 s5, s3, 1
	s_sub_i32 s4, s2, s0
	s_cmp_ge_u32 s2, s0
	s_cselect_b32 s3, s5, s3
	s_cselect_b32 s2, s4, s2
	s_add_i32 s4, s3, 1
	s_cmp_ge_u32 s2, s0
	s_cselect_b32 s0, s4, s3
	s_xor_b32 s0, s0, s1
	s_sub_i32 s29, s0, s1
	v_cvt_f32_u32_e32 v1, s29
	s_sub_i32 s0, 0, s29
                                        ; implicit-def: $vgpr3
                                        ; implicit-def: $vgpr0
	v_rcp_iflag_f32_e32 v1, v1
	s_nop 0
	v_mul_f32_e32 v1, 0x4f7ffffe, v1
	v_cvt_u32_f32_e32 v1, v1
	s_nop 0
	v_readfirstlane_b32 s1, v1
	s_mul_i32 s0, s0, s1
	s_mul_hi_u32 s0, s1, s0
	s_add_i32 s1, s1, s0
	s_mul_hi_u32 s0, s27, s1
	s_mul_i32 s1, s0, s29
	s_sub_i32 s1, s27, s1
	s_add_i32 s2, s0, 1
	s_sub_i32 s3, s1, s29
	s_cmp_ge_u32 s1, s29
	s_cselect_b32 s0, s2, s0
	s_cselect_b32 s1, s3, s1
	s_add_i32 s2, s0, 1
	s_cmp_ge_u32 s1, s29
	s_cselect_b32 s30, s2, s0
	s_and_saveexec_b64 s[0:1], vcc
	s_xor_b64 s[2:3], exec, s[0:1]
	s_cbranch_execz .LBB24_23
; %bb.10:
	v_cmp_ne_u32_e64 s[0:1], 8, v2
                                        ; implicit-def: $vgpr3
                                        ; implicit-def: $vgpr0
	s_and_saveexec_b64 s[4:5], s[0:1]
	s_xor_b64 s[4:5], exec, s[4:5]
	s_cbranch_execz .LBB24_20
; %bb.11:
	v_cmp_lt_u32_e64 s[0:1], 16, v2
                                        ; implicit-def: $vgpr3
                                        ; implicit-def: $vgpr0
	s_and_saveexec_b64 s[6:7], s[0:1]
	s_xor_b64 s[6:7], exec, s[6:7]
	s_cbranch_execz .LBB24_17
; %bb.12:
	s_mul_i32 s17, s30, s16
	v_lshl_add_u32 v0, v12, 1, v12
	s_ashr_i32 s0, s17, 31
	v_ashrrev_i32_e32 v1, 31, v0
	s_lshr_b32 s0, s0, 27
	v_lshrrev_b32_e32 v1, 27, v1
	s_add_i32 s0, s17, s0
	v_add_u32_e32 v0, v0, v1
	s_ashr_i32 s0, s0, 5
	v_ashrrev_i32_e32 v0, 5, v0
	v_mad_u64_u32 v[0:1], s[0:1], s0, 3, v[0:1]
	v_ashrrev_i32_e32 v1, 31, v0
	v_lshl_add_u64 v[0:1], v[0:1], 2, s[10:11]
	global_load_dword v4, v[0:1], off
	v_cmp_ne_u32_e64 s[0:1], 20, v2
                                        ; implicit-def: $vgpr3
	s_and_saveexec_b64 s[20:21], s[0:1]
	s_xor_b64 s[0:1], exec, s[20:21]
	s_cbranch_execz .LBB24_14
; %bb.13:
	v_not_b32_e32 v0, 63
	v_mad_u32_u24 v0, v2, 3, v0
	s_waitcnt vmcnt(0)
	v_lshrrev_b32_e32 v3, v0, v4
                                        ; implicit-def: $vgpr0_vgpr1
                                        ; implicit-def: $vgpr4
.LBB24_14:
	s_andn2_saveexec_b64 s[0:1], s[0:1]
	s_cbranch_execz .LBB24_16
; %bb.15:
	global_load_dword v0, v[0:1], off offset:4
	s_waitcnt vmcnt(0)
	v_alignbit_b32 v0, v0, v4, 28
	v_and_b32_e32 v3, 0xfff, v0
.LBB24_16:
	s_or_b64 exec, exec, s[0:1]
	v_mov_b32_e32 v0, s17
.LBB24_17:
	s_andn2_saveexec_b64 s[0:1], s[6:7]
	s_cbranch_execz .LBB24_19
; %bb.18:
	s_mul_i32 s17, s30, s16
	v_lshl_add_u32 v0, v12, 1, v12
	s_ashr_i32 s6, s17, 31
	v_ashrrev_i32_e32 v1, 31, v0
	s_lshr_b32 s6, s6, 27
	v_lshrrev_b32_e32 v1, 27, v1
	s_add_i32 s6, s17, s6
	v_add_u32_e32 v0, v0, v1
	s_ashr_i32 s6, s6, 5
	v_ashrrev_i32_e32 v0, 5, v0
	v_mad_u64_u32 v[0:1], s[6:7], s6, 3, v[0:1]
	v_ashrrev_i32_e32 v1, 31, v0
	v_lshl_add_u64 v[0:1], v[0:1], 2, s[10:11]
	global_load_dword v0, v[0:1], off
	v_not_b32_e32 v1, 31
	v_mad_u32_u24 v1, v2, 3, v1
	s_waitcnt vmcnt(0)
	v_lshrrev_b32_e32 v3, v1, v0
	v_mov_b32_e32 v0, s17
.LBB24_19:
	s_or_b64 exec, exec, s[0:1]
.LBB24_20:
	s_andn2_saveexec_b64 s[0:1], s[4:5]
	s_cbranch_execz .LBB24_22
; %bb.21:
	s_mul_i32 s6, s30, s16
	v_lshl_add_u32 v0, v12, 1, v12
	s_ashr_i32 s4, s6, 31
	v_ashrrev_i32_e32 v1, 31, v0
	s_lshr_b32 s4, s4, 27
	v_lshrrev_b32_e32 v1, 27, v1
	s_add_i32 s4, s6, s4
	v_add_u32_e32 v0, v0, v1
	s_ashr_i32 s4, s4, 5
	v_ashrrev_i32_e32 v0, 5, v0
	v_mad_u64_u32 v[0:1], s[4:5], s4, 3, v[0:1]
	v_ashrrev_i32_e32 v1, 31, v0
	v_lshl_add_u64 v[0:1], v[0:1], 2, s[10:11]
	global_load_dwordx2 v[0:1], v[0:1], off
	s_mov_b32 s4, 0x2010007
	s_waitcnt vmcnt(0)
	v_perm_b32 v0, v0, v1, s4
	v_and_b32_e32 v3, 0xfff, v0
	v_mov_b32_e32 v0, s6
.LBB24_22:
	s_or_b64 exec, exec, s[0:1]
.LBB24_23:
	s_or_saveexec_b64 s[0:1], s[2:3]
	v_lshl_add_u32 v1, v12, 1, v12
	s_waitcnt vmcnt(0)
	v_ashrrev_i32_e32 v4, 31, v1
	v_mul_u32_u24_e32 v21, 3, v2
	s_xor_b64 exec, exec, s[0:1]
	s_cbranch_execz .LBB24_25
; %bb.24:
	s_mul_i32 s4, s30, s16
	s_ashr_i32 s2, s4, 31
	s_lshr_b32 s2, s2, 27
	v_lshrrev_b32_e32 v0, 27, v4
	s_add_i32 s2, s4, s2
	v_add_u32_e32 v0, v1, v0
	s_ashr_i32 s2, s2, 5
	v_ashrrev_i32_e32 v0, 5, v0
	v_mad_u64_u32 v[6:7], s[2:3], s2, 3, v[0:1]
	v_ashrrev_i32_e32 v7, 31, v6
	v_lshl_add_u64 v[6:7], v[6:7], 2, s[10:11]
	global_load_dword v0, v[6:7], off
	s_waitcnt vmcnt(0)
	v_lshrrev_b32_e32 v3, v21, v0
	v_mov_b32_e32 v0, s4
.LBB24_25:
	s_or_b64 exec, exec, s[0:1]
	s_mov_b32 s31, 0
	v_mov_b32_e32 v24, 0
	s_cmp_ge_i32 s27, s28
	v_mov_b32_e32 v23, 0
	v_mov_b32_e32 v22, 0
	;; [unrolled: 1-line block ×5, first 2 shown]
	s_cbranch_scc1 .LBB24_46
; %bb.26:
	v_add_u32_e32 v6, v0, v12
	v_ashrrev_i32_e32 v7, 31, v6
	v_lshl_add_u64 v[6:7], v[6:7], 1, s[12:13]
	global_load_dwordx2 v[18:19], v[6:7], off
	s_lshr_b32 s0, s27, 5
	s_mul_i32 s0, s0, s16
	s_mul_i32 s6, s0, 3
	s_add_i32 s33, s29, s27
	s_ashr_i32 s7, s6, 31
	s_bitcmp1_b32 s19, 0
	s_cselect_b64 s[0:1], -1, 0
	v_lshrrev_b32_e32 v0, 27, v4
	s_xor_b64 s[0:1], s[0:1], -1
	v_add_u32_e32 v0, v1, v0
	s_ashr_i32 s17, s16, 31
	s_lshl_b64 s[6:7], s[6:7], 2
	v_ashrrev_i32_e32 v14, 5, v0
	v_not_b32_e32 v0, 63
	s_add_u32 s6, s8, s6
	v_ashrrev_i32_e32 v13, 31, v12
	v_mad_u32_u24 v26, v2, 3, v0
	v_not_b32_e32 v0, 31
	s_addc_u32 s7, s9, s7
	v_cndmask_b32_e64 v25, 0, 1, s[0:1]
	v_bfe_u32 v29, v3, 9, 3
	v_bfe_u32 v30, v3, 6, 3
	;; [unrolled: 1-line block ×3, first 2 shown]
	v_and_b32_e32 v32, 7, v3
	v_cmp_ne_u32_e64 s[0:1], 8, v2
	v_cmp_lt_u32_e64 s[2:3], 16, v2
	v_cmp_ne_u32_e64 s[4:5], 20, v2
	v_mad_u32_u24 v27, v2, 3, v0
	v_lshl_add_u64 v[16:17], v[12:13], 2, s[6:7]
	s_mul_hi_i32 s7, s16, 12
	s_mul_i32 s6, s16, 12
	s_lshl_b64 s[8:9], s[16:17], 2
	v_mov_b32_e32 v13, 0
	s_mov_b32 s17, 0x2010007
	s_mov_b32 s34, 0x10001
	;; [unrolled: 1-line block ×3, first 2 shown]
	s_movk_i32 s36, 0x3000
	s_movk_i32 s37, 0x2400
	s_mov_b32 s38, 0x7060302
	v_mov_b32_e32 v28, 0xe400e400
	v_mov_b32_e32 v15, 0
	;; [unrolled: 1-line block ×6, first 2 shown]
	s_branch .LBB24_29
.LBB24_27:                              ;   in Loop: Header=BB24_29 Depth=1
	s_or_b64 exec, exec, s[18:19]
	v_add_u32_e32 v0, s39, v12
	v_ashrrev_i32_e32 v1, 31, v0
	v_lshl_add_u64 v[0:1], v[0:1], 1, s[12:13]
	global_load_dwordx2 v[18:19], v[0:1], off
	s_add_i32 s33, s33, s29
	v_and_b32_e32 v32, 7, v2
	v_bfe_u32 v31, v2, 3, 3
	v_bfe_u32 v30, v2, 6, 3
	;; [unrolled: 1-line block ×3, first 2 shown]
.LBB24_28:                              ;   in Loop: Header=BB24_29 Depth=1
	v_lshl_add_u64 v[0:1], v[16:17], 0, s[8:9]
	global_load_dwordx4 v[8:11], v[16:17], off
	global_load_dwordx4 v[4:7], v[0:1], off
	v_lshl_add_u64 v[0:1], v[0:1], 0, s[8:9]
	global_load_dwordx4 v[0:3], v[0:1], off
	v_add_u32_e32 v35, v30, v25
	v_cvt_f32_u32_e32 v41, v35
	v_add_u32_e32 v33, v32, v25
	v_add_u32_e32 v34, v31, v25
	v_cvt_f32_u32_e32 v39, v33
	v_cvt_f32_u32_e32 v40, v34
	v_cvt_f16_f32_e32 v41, v41
	v_add_u32_e32 v38, v29, v25
	v_mad_u32_u24 v36, v34, s34, v28
	v_mad_u32_u24 v34, v35, s34, v28
	v_cvt_f32_u32_e32 v35, v38
	v_cvt_f16_f32_e32 v45, v39
	v_cvt_f16_f32_e32 v44, v40
	v_sub_f16_e32 v39, 0xd800, v41
	v_mul_u32_u24_e32 v61, 0x10001, v39
	v_cvt_f16_f32_e32 v40, v35
	v_sub_f16_e32 v35, 0xd800, v45
	v_mad_u32_u24 v37, v33, s34, v28
	v_mad_u32_u24 v33, v38, s34, v28
	v_sub_f16_e32 v38, 0xd800, v44
	v_mul_u32_u24_e32 v65, 0x10001, v35
	v_mul_u32_u24_e32 v63, 0x10001, v38
	v_sub_f16_e32 v42, 0xd800, v40
	v_mul_u32_u24_e32 v58, 0x10001, v42
	v_sub_f16_e32 v40, 0xcc00, v40
	v_sub_f16_e32 v45, 0xcc00, v45
	v_mul_u32_u24_e32 v101, 0x10001, v45
	v_sub_f16_e32 v41, 0xcc00, v41
	v_sub_f16_e32 v44, 0xcc00, v44
	v_mul_u32_u24_e32 v100, 0x10001, v44
	s_add_i32 s27, s27, 32
	v_lshl_add_u64 v[16:17], v[16:17], 0, s[6:7]
	s_waitcnt vmcnt(2)
	v_and_b32_e32 v51, 0x70007, v10
	v_and_b32_e32 v52, 0x380038, v10
	v_lshrrev_b32_e32 v75, 6, v10
	v_lshrrev_b32_e32 v43, 15, v10
	s_waitcnt vmcnt(0)
	v_and_b32_e32 v86, 0x70007, v0
	v_and_b32_e32 v87, 0x380038, v0
	v_lshrrev_b32_e32 v70, 6, v0
	v_lshrrev_b32_e32 v71, 13, v0
	v_and_b32_e32 v88, 0x70007, v1
	v_and_b32_e32 v89, 0x380038, v1
	v_lshrrev_b32_e32 v68, 6, v1
	v_lshrrev_b32_e32 v69, 13, v1
	v_or_b32_e32 v0, 0x64006400, v51
	v_or_b32_e32 v1, 0x64006400, v52
	v_mov_b32_e32 v10, s31
	v_and_b32_e32 v90, 0x70007, v2
	v_and_b32_e32 v91, 0x380038, v2
	v_lshrrev_b32_e32 v66, 6, v2
	v_lshrrev_b32_e32 v67, 13, v2
	v_and_b32_e32 v92, 0x70007, v3
	v_and_b32_e32 v93, 0x380038, v3
	v_lshrrev_b32_e32 v62, 6, v3
	v_lshrrev_b32_e32 v64, 13, v3
	v_pk_add_f16 v2, v34, v0
	v_pk_fma_f16 v3, v1, s36, v61 op_sel_hi:[1,0,1]
	ds_read2_b32 v[0:1], v10 offset1:1
	v_and_b32_e32 v35, 0x70007, v8
	v_and_b32_e32 v38, 0x380038, v8
	v_lshrrev_b32_e32 v56, 6, v8
	v_lshrrev_b32_e32 v47, 15, v8
	v_and_b32_e32 v8, 0x70007, v9
	v_and_b32_e32 v76, 0x70007, v4
	;; [unrolled: 1-line block ×3, first 2 shown]
	v_lshrrev_b32_e32 v79, 6, v4
	v_lshrrev_b32_e32 v57, 14, v4
	v_or_b32_e32 v4, 0x64006400, v35
	v_and_b32_e32 v39, 0x380038, v9
	v_and_b32_e32 v77, 0x70007, v11
	;; [unrolled: 1-line block ×4, first 2 shown]
	v_lshrrev_b32_e32 v78, 6, v5
	v_lshrrev_b32_e32 v54, 14, v5
	v_and_b32_e32 v81, 0x70007, v6
	v_and_b32_e32 v50, 0x380038, v6
	v_lshrrev_b32_e32 v73, 6, v6
	v_lshrrev_b32_e32 v53, 14, v6
	v_or_b32_e32 v5, 0x64006400, v38
	v_or_b32_e32 v6, 0x64006400, v8
	v_pk_add_f16 v8, v37, v4
	v_lshrrev_b32_e32 v55, 6, v9
	v_lshrrev_b32_e32 v46, 15, v9
	v_and_b32_e32 v83, 0x380038, v11
	v_lshrrev_b32_e32 v74, 6, v11
	v_lshrrev_b32_e32 v42, 15, v11
	v_and_b32_e32 v80, 0x70007, v7
	v_and_b32_e32 v49, 0x380038, v7
	v_lshrrev_b32_e32 v72, 6, v7
	v_lshrrev_b32_e32 v48, 14, v7
	v_or_b32_e32 v7, 0x64006400, v39
	v_pk_fma_f16 v9, v5, s36, v65 op_sel_hi:[1,0,1]
	v_pk_add_f16 v6, v36, v6
	v_or_b32_e32 v4, 0x64006400, v77
	s_waitcnt lgkmcnt(0)
	v_pk_fma_f16 v11, v8, v0, 0
	v_pk_fma_f16 v7, v7, s36, v63 op_sel_hi:[1,0,1]
	v_or_b32_e32 v5, 0x64006400, v83
	v_pk_add_f16 v4, v33, v4
	v_pk_fma_f16 v77, v9, v1, v11
	v_pk_fma_f16 v11, v6, v0, 0
	v_pk_fma_f16 v5, v5, s36, v58 op_sel_hi:[1,0,1]
	v_pk_fma_f16 v83, v7, v1, v11
	v_pk_fma_f16 v11, v2, v0, 0
	;; [unrolled: 1-line block ×3, first 2 shown]
	ds_read2_b32 v[84:85], v10 offset0:2 offset1:3
	ds_read2_b32 v[94:95], v10 offset0:4 offset1:5
	;; [unrolled: 1-line block ×3, first 2 shown]
	v_pk_fma_f16 v99, v5, v1, v0
	v_and_b32_e32 v0, 0x70007, v56
	v_or_b32_e32 v0, 0x64006400, v0
	v_pk_fma_f16 v98, v3, v1, v11
	v_and_b32_e32 v1, 0x380038, v56
	v_pk_add_f16 v51, v37, v0
	v_and_b32_e32 v0, 0x70007, v55
	v_or_b32_e32 v1, 0x64006400, v1
	v_or_b32_e32 v0, 0x64006400, v0
	v_pk_fma_f16 v52, v1, s36, v65 op_sel_hi:[1,0,1]
	v_and_b32_e32 v1, 0x380038, v55
	v_pk_add_f16 v38, v36, v0
	v_and_b32_e32 v0, 0x70007, v75
	v_or_b32_e32 v1, 0x64006400, v1
	v_or_b32_e32 v0, 0x64006400, v0
	s_waitcnt lgkmcnt(2)
	v_pk_fma_f16 v77, v51, v84, v77
	v_pk_fma_f16 v39, v1, s36, v63 op_sel_hi:[1,0,1]
	v_and_b32_e32 v1, 0x380038, v75
	v_pk_add_f16 v11, v34, v0
	v_and_b32_e32 v0, 0x70007, v74
	v_pk_fma_f16 v102, v52, v85, v77
	v_pk_fma_f16 v77, v38, v84, v83
	v_or_b32_e32 v1, 0x64006400, v1
	v_or_b32_e32 v0, 0x64006400, v0
	v_pk_fma_f16 v83, v39, v85, v77
	v_pk_fma_f16 v77, v11, v84, v98
	v_mul_u32_u24_e32 v98, 0x10001, v40
	v_and_b32_e32 v40, 0x1c001c0, v56
	v_pk_fma_f16 v35, v1, s36, v61 op_sel_hi:[1,0,1]
	v_pk_add_f16 v0, v33, v0
	v_or_b32_e32 v40, 0x64006400, v40
	v_and_b32_e32 v1, 0x380038, v74
	v_pk_fma_f16 v103, v35, v85, v77
	v_pk_fma_f16 v77, v0, v84, v99
	v_mul_u32_u24_e32 v99, 0x10001, v41
	v_or_b32_e32 v41, 0x64006400, v76
	v_pk_fma_f16 v76, v40, s37, v101 op_sel_hi:[1,0,1]
	v_and_b32_e32 v40, 0x1c001c0, v55
	v_or_b32_e32 v1, 0x64006400, v1
	v_or_b32_e32 v40, 0x64006400, v40
	v_pk_fma_f16 v1, v1, s36, v58 op_sel_hi:[1,0,1]
	v_pk_fma_f16 v55, v40, s37, v100 op_sel_hi:[1,0,1]
	v_and_b32_e32 v40, 0x1c001c0, v75
	v_pk_fma_f16 v84, v1, v85, v77
	v_pk_add_f16 v77, v37, v41
	v_or_b32_e32 v41, 0x64006400, v82
	v_or_b32_e32 v40, 0x64006400, v40
	v_pk_add_f16 v56, v36, v41
	v_or_b32_e32 v41, 0x64006400, v81
	v_pk_fma_f16 v44, v40, s37, v99 op_sel_hi:[1,0,1]
	v_and_b32_e32 v40, 0x1c001c0, v74
	s_waitcnt lgkmcnt(1)
	v_pk_fma_f16 v74, v76, v94, v102
	v_pk_add_f16 v45, v34, v41
	v_or_b32_e32 v40, 0x64006400, v40
	v_or_b32_e32 v41, 0x64006400, v80
	v_pk_fma_f16 v80, v77, v95, v74
	v_pk_fma_f16 v74, v55, v94, v83
	v_pk_fma_f16 v40, v40, s37, v98 op_sel_hi:[1,0,1]
	v_pk_fma_f16 v81, v56, v95, v74
	v_pk_fma_f16 v74, v44, v94, v103
	v_pk_add_f16 v41, v33, v41
	v_pk_fma_f16 v85, v45, v95, v74
	v_pk_fma_f16 v74, v40, v94, v84
	v_or_b32_e32 v60, 0x64006400, v60
	v_pk_fma_f16 v84, v41, v95, v74
	v_and_b32_e32 v74, 0x70007, v79
	v_or_b32_e32 v74, 0x64006400, v74
	v_pk_fma_f16 v83, v60, s36, v65 op_sel_hi:[1,0,1]
	v_or_b32_e32 v59, 0x64006400, v59
	v_and_b32_e32 v60, 0x70007, v78
	v_pk_add_f16 v82, v37, v74
	v_or_b32_e32 v60, 0x64006400, v60
	v_pk_fma_f16 v74, v59, s36, v63 op_sel_hi:[1,0,1]
	v_or_b32_e32 v50, 0x64006400, v50
	v_and_b32_e32 v59, 0x70007, v73
	s_waitcnt lgkmcnt(0)
	v_pk_fma_f16 v80, v83, v96, v80
	v_pk_add_f16 v75, v36, v60
	v_or_b32_e32 v60, 0x64006400, v59
	v_pk_fma_f16 v59, v50, s36, v61 op_sel_hi:[1,0,1]
	v_or_b32_e32 v49, 0x64006400, v49
	v_and_b32_e32 v50, 0x70007, v72
	v_pk_fma_f16 v108, v82, v97, v80
	v_pk_fma_f16 v80, v74, v96, v81
	v_pk_add_f16 v60, v34, v60
	v_or_b32_e32 v50, 0x64006400, v50
	v_pk_fma_f16 v49, v49, s36, v58 op_sel_hi:[1,0,1]
	v_pk_fma_f16 v109, v75, v97, v80
	v_pk_fma_f16 v80, v59, v96, v85
	v_pk_add_f16 v50, v33, v50
	v_pk_fma_f16 v110, v60, v97, v80
	v_pk_fma_f16 v80, v49, v96, v84
	ds_read2_b32 v[94:95], v10 offset0:8 offset1:9
	v_pk_fma_f16 v96, v50, v97, v80
	v_and_b32_e32 v80, 0x380038, v79
	v_and_b32_e32 v79, 0x1c001c0, v79
	v_or_b32_e32 v79, 0x64006400, v79
	v_pk_fma_f16 v85, v79, s37, v101 op_sel_hi:[1,0,1]
	v_and_b32_e32 v79, 0x380038, v78
	v_and_b32_e32 v78, 0x1c001c0, v78
	v_or_b32_e32 v78, 0x64006400, v78
	v_pk_fma_f16 v81, v78, s37, v100 op_sel_hi:[1,0,1]
	v_and_b32_e32 v78, 0x380038, v73
	v_and_b32_e32 v73, 0x1c001c0, v73
	v_or_b32_e32 v80, 0x64006400, v80
	v_or_b32_e32 v79, 0x64006400, v79
	;; [unrolled: 1-line block ×3, first 2 shown]
	v_pk_fma_f16 v84, v80, s36, v65 op_sel_hi:[1,0,1]
	v_pk_fma_f16 v80, v79, s36, v63 op_sel_hi:[1,0,1]
	;; [unrolled: 1-line block ×3, first 2 shown]
	v_and_b32_e32 v73, 0x380038, v72
	v_and_b32_e32 v72, 0x1c001c0, v72
	v_or_b32_e32 v73, 0x64006400, v73
	v_or_b32_e32 v97, 0x64006400, v72
	;; [unrolled: 1-line block ×3, first 2 shown]
	v_pk_fma_f16 v72, v73, s36, v58 op_sel_hi:[1,0,1]
	v_pk_fma_f16 v73, v97, s37, v98 op_sel_hi:[1,0,1]
	ds_read2_b32 v[102:103], v10 offset0:10 offset1:11
	ds_read2_b32 v[104:105], v10 offset0:12 offset1:13
	;; [unrolled: 1-line block ×3, first 2 shown]
	s_waitcnt lgkmcnt(3)
	v_pk_fma_f16 v97, v84, v94, v108
	v_pk_fma_f16 v78, v78, s36, v61 op_sel_hi:[1,0,1]
	v_pk_fma_f16 v108, v85, v95, v97
	v_pk_fma_f16 v97, v80, v94, v109
	v_or_b32_e32 v86, 0x64006400, v86
	v_pk_fma_f16 v109, v81, v95, v97
	v_pk_fma_f16 v97, v78, v94, v110
	;; [unrolled: 1-line block ×3, first 2 shown]
	v_or_b32_e32 v87, 0x64006400, v87
	v_pk_add_f16 v96, v37, v86
	v_or_b32_e32 v86, 0x64006400, v88
	v_pk_fma_f16 v110, v79, v95, v97
	v_pk_fma_f16 v111, v73, v95, v94
	v_pk_fma_f16 v97, v87, s36, v65 op_sel_hi:[1,0,1]
	v_or_b32_e32 v87, 0x64006400, v89
	v_pk_add_f16 v94, v36, v86
	v_or_b32_e32 v86, 0x64006400, v90
	s_waitcnt lgkmcnt(2)
	v_pk_fma_f16 v90, v96, v102, v108
	v_pk_fma_f16 v95, v87, s36, v63 op_sel_hi:[1,0,1]
	v_or_b32_e32 v87, 0x64006400, v91
	v_pk_add_f16 v88, v34, v86
	v_or_b32_e32 v86, 0x64006400, v92
	v_pk_fma_f16 v108, v97, v103, v90
	v_pk_fma_f16 v90, v94, v102, v109
	v_pk_fma_f16 v89, v87, s36, v61 op_sel_hi:[1,0,1]
	v_or_b32_e32 v87, 0x64006400, v93
	v_pk_add_f16 v86, v33, v86
	v_pk_fma_f16 v109, v95, v103, v90
	v_pk_fma_f16 v90, v88, v102, v110
	v_pk_fma_f16 v87, v87, s36, v58 op_sel_hi:[1,0,1]
	v_pk_fma_f16 v110, v89, v103, v90
	v_pk_fma_f16 v90, v86, v102, v111
	v_and_b32_e32 v57, 0x20002, v57
	v_pk_fma_f16 v102, v87, v103, v90
	v_and_b32_e32 v90, 0x380038, v70
	v_or_b32_e32 v90, 0x64006400, v90
	v_pk_fma_f16 v91, v90, s36, v65 op_sel_hi:[1,0,1]
	v_and_b32_e32 v65, 0x380038, v68
	v_or_b32_e32 v65, 0x64006400, v65
	v_pk_fma_f16 v90, v65, s36, v63 op_sel_hi:[1,0,1]
	;; [unrolled: 3-line block ×4, first 2 shown]
	v_and_b32_e32 v63, 0x70007, v70
	v_and_or_b32 v47, v47, s34, v57
	v_and_b32_e32 v57, 0x40004, v71
	v_or_b32_e32 v63, 0x64006400, v63
	v_or3_b32 v47, v47, v57, s35
	v_pk_add_f16 v93, v37, v63
	v_and_b32_e32 v57, 0x1c001c0, v70
	v_pk_add_f16 v70, v37, v47
	v_and_b32_e32 v37, 0x20002, v54
	v_and_b32_e32 v63, 0x70007, v68
	v_and_or_b32 v37, v46, s34, v37
	v_and_b32_e32 v46, 0x40004, v69
	v_or_b32_e32 v63, 0x64006400, v63
	v_or3_b32 v37, v37, v46, s35
	v_pk_add_f16 v92, v36, v63
	v_pk_add_f16 v47, v36, v37
	v_and_b32_e32 v36, 0x20002, v53
	v_and_b32_e32 v63, 0x70007, v66
	v_and_or_b32 v36, v43, s34, v36
	v_and_b32_e32 v37, 0x40004, v67
	v_or_b32_e32 v63, 0x64006400, v63
	v_or3_b32 v36, v36, v37, s35
	v_pk_add_f16 v65, v34, v63
	v_and_b32_e32 v37, 0x1c001c0, v66
	v_pk_add_f16 v43, v34, v36
	v_and_b32_e32 v34, 0x20002, v48
	ds_read2_b32 v[66:67], v10 offset0:64 offset1:65
	v_and_or_b32 v34, v42, s34, v34
	v_and_b32_e32 v36, 0x40004, v64
	v_and_b32_e32 v46, 0x1c001c0, v68
	v_or3_b32 v36, v34, v36, s35
	v_and_b32_e32 v34, 0x1c001c0, v62
	v_or_b32_e32 v57, 0x64006400, v57
	v_or_b32_e32 v46, 0x64006400, v46
	;; [unrolled: 1-line block ×4, first 2 shown]
	v_pk_fma_f16 v57, v57, s37, v101 op_sel_hi:[1,0,1]
	v_pk_fma_f16 v46, v46, s37, v100 op_sel_hi:[1,0,1]
	;; [unrolled: 1-line block ×4, first 2 shown]
	ds_read2_b32 v[68:69], v10 offset0:66 offset1:67
	ds_read2_b32 v[98:99], v10 offset0:68 offset1:69
	;; [unrolled: 1-line block ×3, first 2 shown]
	v_and_b32_e32 v63, 0x70007, v62
	s_waitcnt lgkmcnt(3)
	v_pk_fma_f16 v53, v8, v66, 0
	v_pk_fma_f16 v62, v6, v66, 0
	;; [unrolled: 1-line block ×7, first 2 shown]
	s_waitcnt lgkmcnt(2)
	v_pk_fma_f16 v66, v0, v68, v66
	v_pk_fma_f16 v64, v3, v67, v64
	;; [unrolled: 1-line block ×4, first 2 shown]
	s_waitcnt lgkmcnt(1)
	v_pk_fma_f16 v66, v40, v98, v66
	v_pk_fma_f16 v62, v38, v68, v62
	;; [unrolled: 1-line block ×7, first 2 shown]
	s_waitcnt lgkmcnt(0)
	v_pk_fma_f16 v68, v49, v100, v66
	ds_read2_b32 v[66:67], v10 offset0:72 offset1:73
	v_pk_fma_f16 v53, v76, v98, v53
	v_pk_fma_f16 v62, v55, v98, v62
	;; [unrolled: 1-line block ×13, first 2 shown]
	ds_read2_b32 v[68:69], v10 offset0:74 offset1:75
	ds_read2_b32 v[98:99], v10 offset0:76 offset1:77
	;; [unrolled: 1-line block ×3, first 2 shown]
	s_waitcnt lgkmcnt(3)
	v_pk_fma_f16 v53, v84, v66, v53
	v_pk_fma_f16 v62, v80, v66, v62
	;; [unrolled: 1-line block ×5, first 2 shown]
	s_waitcnt lgkmcnt(2)
	v_pk_fma_f16 v53, v96, v68, v53
	v_pk_fma_f16 v64, v79, v67, v64
	;; [unrolled: 1-line block ×8, first 2 shown]
	s_waitcnt lgkmcnt(1)
	v_pk_fma_f16 v53, v93, v98, v53
	v_or_b32_e32 v63, 0x64006400, v63
	v_pk_fma_f16 v64, v89, v69, v64
	v_pk_fma_f16 v66, v86, v68, v66
	;; [unrolled: 1-line block ×4, first 2 shown]
	v_pk_add_f16 v63, v33, v63
	v_pk_fma_f16 v66, v87, v69, v66
	v_pk_fma_f16 v62, v90, v99, v62
	v_pk_fma_f16 v64, v65, v98, v64
	s_waitcnt lgkmcnt(0)
	v_pk_fma_f16 v53, v57, v100, v53
	v_pk_fma_f16 v64, v61, v99, v64
	;; [unrolled: 1-line block ×11, first 2 shown]
	ds_read2_b32 v[66:67], v10 offset0:128 offset1:129
	v_pk_fma_f16 v102, v58, v105, v102
	v_pk_add_f16 v33, v33, v36
	v_pk_fma_f16 v42, v34, v106, v102
	v_pk_fma_f16 v102, v33, v101, v53
	ds_read2_b32 v[68:69], v10 offset0:130 offset1:131
	ds_read2_b32 v[98:99], v10 offset0:132 offset1:133
	;; [unrolled: 1-line block ×3, first 2 shown]
	s_waitcnt lgkmcnt(3)
	v_pk_fma_f16 v8, v8, v66, 0
	v_pk_fma_f16 v2, v2, v66, 0
	v_pk_fma_f16 v8, v9, v67, v8
	v_pk_fma_f16 v6, v6, v66, 0
	s_waitcnt lgkmcnt(2)
	v_pk_fma_f16 v8, v51, v68, v8
	v_pk_fma_f16 v2, v3, v67, v2
	v_pk_fma_f16 v8, v52, v69, v8
	v_pk_fma_f16 v3, v4, v66, 0
	;; [unrolled: 5-line block ×3, first 2 shown]
	v_pk_fma_f16 v6, v38, v68, v6
	v_pk_fma_f16 v2, v11, v68, v2
	;; [unrolled: 1-line block ×3, first 2 shown]
	s_waitcnt lgkmcnt(0)
	v_pk_fma_f16 v51, v83, v100, v8
	ds_read2_b32 v[8:9], v10 offset0:136 offset1:137
	v_pk_fma_f16 v6, v39, v69, v6
	v_pk_fma_f16 v2, v35, v69, v2
	;; [unrolled: 1-line block ×16, first 2 shown]
	ds_read2_b32 v[52:53], v10 offset0:138 offset1:139
	ds_read2_b32 v[76:77], v10 offset0:140 offset1:141
	;; [unrolled: 1-line block ×3, first 2 shown]
	v_pk_fma_f16 v6, v75, v101, v6
	v_pk_fma_f16 v2, v60, v101, v2
	;; [unrolled: 1-line block ×6, first 2 shown]
	s_waitcnt lgkmcnt(3)
	v_pk_fma_f16 v10, v84, v8, v51
	v_pk_fma_f16 v6, v80, v8, v6
	;; [unrolled: 1-line block ×13, first 2 shown]
	s_waitcnt lgkmcnt(2)
	v_pk_fma_f16 v10, v96, v52, v10
	v_pk_fma_f16 v6, v94, v52, v6
	;; [unrolled: 1-line block ×10, first 2 shown]
	s_waitcnt lgkmcnt(1)
	v_pk_fma_f16 v10, v93, v76, v10
	v_pk_fma_f16 v6, v92, v76, v6
	v_pack_b32_f16 v7, v48, v54
	v_perm_b32 v38, v54, v48, s38
	v_pk_fma_f16 v2, v65, v76, v2
	v_pk_fma_f16 v0, v63, v76, v0
	v_pack_b32_f16 v1, v36, v42
	v_perm_b32 v3, v42, v36, s38
	v_pk_fma_f16 v10, v91, v77, v10
	v_pk_fma_f16 v6, v90, v77, v6
	v_pk_add_f16 v7, v7, v38
	v_pk_fma_f16 v2, v61, v77, v2
	v_pk_fma_f16 v0, v58, v77, v0
	v_pk_add_f16 v1, v1, v3
	s_waitcnt lgkmcnt(0)
	v_pk_fma_f16 v10, v57, v82, v10
	v_pk_fma_f16 v6, v46, v82, v6
	;; [unrolled: 1-line block ×3, first 2 shown]
	v_pack_b32_f16 v7, v71, v62
	v_perm_b32 v38, v62, v71, s38
	v_pk_fma_f16 v2, v37, v82, v2
	v_pk_fma_f16 v0, v34, v82, v0
	;; [unrolled: 1-line block ×3, first 2 shown]
	v_pack_b32_f16 v1, v64, v102
	v_perm_b32 v3, v102, v64, s38
	v_pk_fma_f16 v10, v70, v83, v10
	v_pk_fma_f16 v6, v47, v83, v6
	v_pk_add_f16 v7, v7, v38
	v_pk_fma_f16 v2, v43, v83, v2
	v_pk_fma_f16 v0, v33, v83, v0
	v_pk_add_f16 v1, v1, v3
	v_pk_fma_f16 v22, v7, v18, v22
	v_pack_b32_f16 v7, v10, v6
	v_perm_b32 v6, v6, v10, s38
	v_pk_fma_f16 v20, v1, v19, v20
	v_pack_b32_f16 v1, v2, v0
	v_perm_b32 v0, v0, v2, s38
	v_pk_add_f16 v6, v7, v6
	v_pk_add_f16 v0, v1, v0
	s_add_i32 s31, s31, 64
	v_pk_fma_f16 v15, v6, v18, v15
	v_pk_fma_f16 v13, v0, v19, v13
	s_cmp_ge_i32 s27, s28
	s_cbranch_scc1 .LBB24_46
.LBB24_29:                              ; =>This Inner Loop Header: Depth=1
	s_cmp_lg_u32 s27, s33
	s_cbranch_scc1 .LBB24_28
; %bb.30:                               ;   in Loop: Header=BB24_29 Depth=1
	s_add_i32 s30, s30, 1
	s_mul_i32 s39, s30, s16
	s_ashr_i32 s18, s39, 31
	s_lshr_b32 s18, s18, 27
	s_add_i32 s18, s39, s18
	s_ashr_i32 s18, s18, 5
	v_mad_u64_u32 v[0:1], s[18:19], s18, 3, v[14:15]
	v_ashrrev_i32_e32 v1, 31, v0
	v_lshl_add_u64 v[0:1], v[0:1], 2, s[10:11]
	global_load_dword v3, v[0:1], off
                                        ; implicit-def: $vgpr2
	s_and_saveexec_b64 s[18:19], vcc
	s_xor_b64 s[18:19], exec, s[18:19]
	s_cbranch_execz .LBB24_44
; %bb.31:                               ;   in Loop: Header=BB24_29 Depth=1
                                        ; implicit-def: $vgpr2
	s_and_saveexec_b64 s[20:21], s[0:1]
	s_xor_b64 s[20:21], exec, s[20:21]
	s_cbranch_execz .LBB24_41
; %bb.32:                               ;   in Loop: Header=BB24_29 Depth=1
                                        ; implicit-def: $vgpr2
	s_and_saveexec_b64 s[22:23], s[2:3]
	;; [unrolled: 5-line block ×3, first 2 shown]
	s_xor_b64 s[24:25], exec, s[24:25]
	s_cbranch_execz .LBB24_35
; %bb.34:                               ;   in Loop: Header=BB24_29 Depth=1
	s_waitcnt vmcnt(0)
	v_lshrrev_b32_e32 v2, v26, v3
                                        ; implicit-def: $vgpr0_vgpr1
                                        ; implicit-def: $vgpr3
.LBB24_35:                              ;   in Loop: Header=BB24_29 Depth=1
	s_andn2_saveexec_b64 s[24:25], s[24:25]
	s_cbranch_execz .LBB24_37
; %bb.36:                               ;   in Loop: Header=BB24_29 Depth=1
	global_load_dword v0, v[0:1], off offset:4
	s_waitcnt vmcnt(0)
	v_alignbit_b32 v0, v0, v3, 28
	v_and_b32_e32 v2, 0xfff, v0
.LBB24_37:                              ;   in Loop: Header=BB24_29 Depth=1
	s_or_b64 exec, exec, s[24:25]
                                        ; implicit-def: $vgpr3
.LBB24_38:                              ;   in Loop: Header=BB24_29 Depth=1
	s_andn2_saveexec_b64 s[22:23], s[22:23]
	s_cbranch_execz .LBB24_40
; %bb.39:                               ;   in Loop: Header=BB24_29 Depth=1
	s_waitcnt vmcnt(0)
	v_lshrrev_b32_e32 v2, v27, v3
.LBB24_40:                              ;   in Loop: Header=BB24_29 Depth=1
	s_or_b64 exec, exec, s[22:23]
                                        ; implicit-def: $vgpr0_vgpr1
                                        ; implicit-def: $vgpr3
.LBB24_41:                              ;   in Loop: Header=BB24_29 Depth=1
	s_andn2_saveexec_b64 s[20:21], s[20:21]
	s_cbranch_execz .LBB24_43
; %bb.42:                               ;   in Loop: Header=BB24_29 Depth=1
	global_load_dword v0, v[0:1], off offset:4
	s_waitcnt vmcnt(0)
	v_perm_b32 v0, v3, v0, s17
	v_and_b32_e32 v2, 0xfff, v0
.LBB24_43:                              ;   in Loop: Header=BB24_29 Depth=1
	s_or_b64 exec, exec, s[20:21]
                                        ; implicit-def: $vgpr3
.LBB24_44:                              ;   in Loop: Header=BB24_29 Depth=1
	s_andn2_saveexec_b64 s[18:19], s[18:19]
	s_cbranch_execz .LBB24_27
; %bb.45:                               ;   in Loop: Header=BB24_29 Depth=1
	s_waitcnt vmcnt(0)
	v_lshrrev_b32_e32 v2, v21, v3
	s_branch .LBB24_27
.LBB24_46:
	s_mul_i32 s26, s26, s16
	v_add_u32_e32 v0, s26, v12
	v_ashrrev_i32_e32 v1, 31, v0
	v_lshl_add_u64 v[2:3], v[0:1], 1, s[14:15]
	global_load_dword v5, v[2:3], off
	s_mov_b64 s[0:1], 0
.LBB24_47:                              ; =>This Inner Loop Header: Depth=1
	s_waitcnt vmcnt(0)
	v_pk_add_f16 v4, v24, v5
	global_atomic_cmpswap v1, v[2:3], v[4:5], off sc0
	s_waitcnt vmcnt(0)
	v_cmp_eq_u32_e32 vcc, v5, v1
	s_or_b64 s[0:1], vcc, s[0:1]
	v_mov_b32_e32 v5, v1
	s_andn2_b64 exec, exec, s[0:1]
	s_cbranch_execnz .LBB24_47
; %bb.48:
	s_or_b64 exec, exec, s[0:1]
	global_load_dword v5, v[2:3], off offset:4
	s_mov_b64 s[0:1], 0
.LBB24_49:                              ; =>This Inner Loop Header: Depth=1
	s_waitcnt vmcnt(0)
	v_pk_add_f16 v4, v23, v5
	global_atomic_cmpswap v1, v[2:3], v[4:5], off offset:4 sc0
	s_waitcnt vmcnt(0)
	v_cmp_eq_u32_e32 vcc, v5, v1
	s_or_b64 s[0:1], vcc, s[0:1]
	v_mov_b32_e32 v5, v1
	s_andn2_b64 exec, exec, s[0:1]
	s_cbranch_execnz .LBB24_49
; %bb.50:
	s_or_b64 exec, exec, s[0:1]
	v_add_u32_e32 v0, s16, v0
	v_ashrrev_i32_e32 v1, 31, v0
	v_lshl_add_u64 v[2:3], v[0:1], 1, s[14:15]
	global_load_dword v5, v[2:3], off
	s_mov_b64 s[0:1], 0
.LBB24_51:                              ; =>This Inner Loop Header: Depth=1
	s_waitcnt vmcnt(0)
	v_pk_add_f16 v4, v22, v5
	global_atomic_cmpswap v1, v[2:3], v[4:5], off sc0
	s_waitcnt vmcnt(0)
	v_cmp_eq_u32_e32 vcc, v5, v1
	s_or_b64 s[0:1], vcc, s[0:1]
	v_mov_b32_e32 v5, v1
	s_andn2_b64 exec, exec, s[0:1]
	s_cbranch_execnz .LBB24_51
; %bb.52:
	s_or_b64 exec, exec, s[0:1]
	global_load_dword v5, v[2:3], off offset:4
	s_mov_b64 s[0:1], 0
.LBB24_53:                              ; =>This Inner Loop Header: Depth=1
	s_waitcnt vmcnt(0)
	v_pk_add_f16 v4, v20, v5
	global_atomic_cmpswap v1, v[2:3], v[4:5], off offset:4 sc0
	s_waitcnt vmcnt(0)
	v_cmp_eq_u32_e32 vcc, v5, v1
	s_or_b64 s[0:1], vcc, s[0:1]
	v_mov_b32_e32 v5, v1
	s_andn2_b64 exec, exec, s[0:1]
	s_cbranch_execnz .LBB24_53
; %bb.54:
	s_or_b64 exec, exec, s[0:1]
	v_add_u32_e32 v0, s16, v0
	v_ashrrev_i32_e32 v1, 31, v0
	v_lshl_add_u64 v[0:1], v[0:1], 1, s[14:15]
	global_load_dword v3, v[0:1], off
	s_mov_b64 s[0:1], 0
.LBB24_55:                              ; =>This Inner Loop Header: Depth=1
	s_waitcnt vmcnt(0)
	v_pk_add_f16 v2, v15, v3
	global_atomic_cmpswap v2, v[0:1], v[2:3], off sc0
	s_waitcnt vmcnt(0)
	v_cmp_eq_u32_e32 vcc, v3, v2
	s_or_b64 s[0:1], vcc, s[0:1]
	v_mov_b32_e32 v3, v2
	s_andn2_b64 exec, exec, s[0:1]
	s_cbranch_execnz .LBB24_55
; %bb.56:
	s_or_b64 exec, exec, s[0:1]
	global_load_dword v3, v[0:1], off offset:4
	s_mov_b64 s[0:1], 0
.LBB24_57:                              ; =>This Inner Loop Header: Depth=1
	s_waitcnt vmcnt(0)
	v_pk_add_f16 v2, v13, v3
	global_atomic_cmpswap v2, v[0:1], v[2:3], off offset:4 sc0
	s_waitcnt vmcnt(0)
	v_cmp_eq_u32_e32 vcc, v3, v2
	s_or_b64 s[0:1], vcc, s[0:1]
	v_mov_b32_e32 v3, v2
	s_andn2_b64 exec, exec, s[0:1]
	s_cbranch_execnz .LBB24_57
.LBB24_58:
	s_endpgm
	.section	.rodata,"a",@progbits
	.p2align	6, 0x0
	.amdhsa_kernel _ZN4vllm4gptq33gemm_half_q_half_gptq_3bit_kernelILb1ELi3EEEvPK6__halfPKjS6_S4_PS2_iiiibPKi
		.amdhsa_group_segment_fixed_size 768
		.amdhsa_private_segment_fixed_size 0
		.amdhsa_kernarg_size 72
		.amdhsa_user_sgpr_count 2
		.amdhsa_user_sgpr_dispatch_ptr 0
		.amdhsa_user_sgpr_queue_ptr 0
		.amdhsa_user_sgpr_kernarg_segment_ptr 1
		.amdhsa_user_sgpr_dispatch_id 0
		.amdhsa_user_sgpr_kernarg_preload_length 0
		.amdhsa_user_sgpr_kernarg_preload_offset 0
		.amdhsa_user_sgpr_private_segment_size 0
		.amdhsa_uses_dynamic_stack 0
		.amdhsa_enable_private_segment 0
		.amdhsa_system_sgpr_workgroup_id_x 1
		.amdhsa_system_sgpr_workgroup_id_y 1
		.amdhsa_system_sgpr_workgroup_id_z 1
		.amdhsa_system_sgpr_workgroup_info 0
		.amdhsa_system_vgpr_workitem_id 0
		.amdhsa_next_free_vgpr 112
		.amdhsa_next_free_sgpr 40
		.amdhsa_accum_offset 112
		.amdhsa_reserve_vcc 1
		.amdhsa_float_round_mode_32 0
		.amdhsa_float_round_mode_16_64 0
		.amdhsa_float_denorm_mode_32 3
		.amdhsa_float_denorm_mode_16_64 3
		.amdhsa_dx10_clamp 1
		.amdhsa_ieee_mode 1
		.amdhsa_fp16_overflow 0
		.amdhsa_tg_split 0
		.amdhsa_exception_fp_ieee_invalid_op 0
		.amdhsa_exception_fp_denorm_src 0
		.amdhsa_exception_fp_ieee_div_zero 0
		.amdhsa_exception_fp_ieee_overflow 0
		.amdhsa_exception_fp_ieee_underflow 0
		.amdhsa_exception_fp_ieee_inexact 0
		.amdhsa_exception_int_div_zero 0
	.end_amdhsa_kernel
	.section	.text._ZN4vllm4gptq33gemm_half_q_half_gptq_3bit_kernelILb1ELi3EEEvPK6__halfPKjS6_S4_PS2_iiiibPKi,"axG",@progbits,_ZN4vllm4gptq33gemm_half_q_half_gptq_3bit_kernelILb1ELi3EEEvPK6__halfPKjS6_S4_PS2_iiiibPKi,comdat
.Lfunc_end24:
	.size	_ZN4vllm4gptq33gemm_half_q_half_gptq_3bit_kernelILb1ELi3EEEvPK6__halfPKjS6_S4_PS2_iiiibPKi, .Lfunc_end24-_ZN4vllm4gptq33gemm_half_q_half_gptq_3bit_kernelILb1ELi3EEEvPK6__halfPKjS6_S4_PS2_iiiibPKi
                                        ; -- End function
	.set _ZN4vllm4gptq33gemm_half_q_half_gptq_3bit_kernelILb1ELi3EEEvPK6__halfPKjS6_S4_PS2_iiiibPKi.num_vgpr, 112
	.set _ZN4vllm4gptq33gemm_half_q_half_gptq_3bit_kernelILb1ELi3EEEvPK6__halfPKjS6_S4_PS2_iiiibPKi.num_agpr, 0
	.set _ZN4vllm4gptq33gemm_half_q_half_gptq_3bit_kernelILb1ELi3EEEvPK6__halfPKjS6_S4_PS2_iiiibPKi.numbered_sgpr, 40
	.set _ZN4vllm4gptq33gemm_half_q_half_gptq_3bit_kernelILb1ELi3EEEvPK6__halfPKjS6_S4_PS2_iiiibPKi.num_named_barrier, 0
	.set _ZN4vllm4gptq33gemm_half_q_half_gptq_3bit_kernelILb1ELi3EEEvPK6__halfPKjS6_S4_PS2_iiiibPKi.private_seg_size, 0
	.set _ZN4vllm4gptq33gemm_half_q_half_gptq_3bit_kernelILb1ELi3EEEvPK6__halfPKjS6_S4_PS2_iiiibPKi.uses_vcc, 1
	.set _ZN4vllm4gptq33gemm_half_q_half_gptq_3bit_kernelILb1ELi3EEEvPK6__halfPKjS6_S4_PS2_iiiibPKi.uses_flat_scratch, 0
	.set _ZN4vllm4gptq33gemm_half_q_half_gptq_3bit_kernelILb1ELi3EEEvPK6__halfPKjS6_S4_PS2_iiiibPKi.has_dyn_sized_stack, 0
	.set _ZN4vllm4gptq33gemm_half_q_half_gptq_3bit_kernelILb1ELi3EEEvPK6__halfPKjS6_S4_PS2_iiiibPKi.has_recursion, 0
	.set _ZN4vllm4gptq33gemm_half_q_half_gptq_3bit_kernelILb1ELi3EEEvPK6__halfPKjS6_S4_PS2_iiiibPKi.has_indirect_call, 0
	.section	.AMDGPU.csdata,"",@progbits
; Kernel info:
; codeLenInByte = 6144
; TotalNumSgprs: 46
; NumVgprs: 112
; NumAgprs: 0
; TotalNumVgprs: 112
; ScratchSize: 0
; MemoryBound: 0
; FloatMode: 240
; IeeeMode: 1
; LDSByteSize: 768 bytes/workgroup (compile time only)
; SGPRBlocks: 5
; VGPRBlocks: 13
; NumSGPRsForWavesPerEU: 46
; NumVGPRsForWavesPerEU: 112
; AccumOffset: 112
; Occupancy: 4
; WaveLimiterHint : 0
; COMPUTE_PGM_RSRC2:SCRATCH_EN: 0
; COMPUTE_PGM_RSRC2:USER_SGPR: 2
; COMPUTE_PGM_RSRC2:TRAP_HANDLER: 0
; COMPUTE_PGM_RSRC2:TGID_X_EN: 1
; COMPUTE_PGM_RSRC2:TGID_Y_EN: 1
; COMPUTE_PGM_RSRC2:TGID_Z_EN: 1
; COMPUTE_PGM_RSRC2:TIDIG_COMP_CNT: 0
; COMPUTE_PGM_RSRC3_GFX90A:ACCUM_OFFSET: 27
; COMPUTE_PGM_RSRC3_GFX90A:TG_SPLIT: 0
	.section	.text._ZN4vllm4gptq33gemm_half_q_half_gptq_4bit_kernelILb1ELi3EEEvPK6__halfPKjS6_S4_PS2_iiiibPKi,"axG",@progbits,_ZN4vllm4gptq33gemm_half_q_half_gptq_4bit_kernelILb1ELi3EEEvPK6__halfPKjS6_S4_PS2_iiiibPKi,comdat
	.protected	_ZN4vllm4gptq33gemm_half_q_half_gptq_4bit_kernelILb1ELi3EEEvPK6__halfPKjS6_S4_PS2_iiiibPKi ; -- Begin function _ZN4vllm4gptq33gemm_half_q_half_gptq_4bit_kernelILb1ELi3EEEvPK6__halfPKjS6_S4_PS2_iiiibPKi
	.globl	_ZN4vllm4gptq33gemm_half_q_half_gptq_4bit_kernelILb1ELi3EEEvPK6__halfPKjS6_S4_PS2_iiiibPKi
	.p2align	8
	.type	_ZN4vllm4gptq33gemm_half_q_half_gptq_4bit_kernelILb1ELi3EEEvPK6__halfPKjS6_S4_PS2_iiiibPKi,@function
_ZN4vllm4gptq33gemm_half_q_half_gptq_4bit_kernelILb1ELi3EEEvPK6__halfPKjS6_S4_PS2_iiiibPKi: ; @_ZN4vllm4gptq33gemm_half_q_half_gptq_4bit_kernelILb1ELi3EEEvPK6__halfPKjS6_S4_PS2_iiiibPKi
; %bb.0:
	s_load_dwordx8 s[8:15], s[0:1], 0x8
	s_load_dwordx4 s[16:19], s[0:1], 0x2c
	s_lshl_b32 s25, s4, 7
	s_mul_i32 s24, s3, 3
	s_add_i32 s3, s25, 0x80
	v_cvt_f64_u32_e32 v[2:3], s3
	s_waitcnt lgkmcnt(0)
	v_cvt_f64_i32_e32 v[4:5], s17
	v_min_f64 v[2:3], v[2:3], v[4:5]
	v_cvt_i32_f64_e32 v1, v[2:3]
	v_add_u32_e32 v2, s25, v0
	v_readfirstlane_b32 s26, v1
	v_cmp_lt_u32_e32 vcc, v2, v1
	s_and_saveexec_b64 s[4:5], vcc
	s_cbranch_execz .LBB25_8
; %bb.1:
	s_load_dwordx2 s[22:23], s[0:1], 0x40
	s_load_dwordx2 s[6:7], s[0:1], 0x0
	v_mov_b32_e32 v3, 0
	v_mov_b64_e32 v[6:7], v[2:3]
	s_waitcnt lgkmcnt(0)
	s_cmp_lg_u64 s[22:23], 0
	s_cselect_b64 s[20:21], -1, 0
	s_cmp_eq_u64 s[22:23], 0
	v_lshl_add_u64 v[4:5], v[2:3], 2, s[22:23]
	s_cbranch_scc1 .LBB25_3
; %bb.2:
	global_load_dword v6, v[4:5], off
	s_waitcnt vmcnt(0)
	v_ashrrev_i32_e32 v7, 31, v6
.LBB25_3:
	s_mul_i32 s22, s24, s17
	s_ashr_i32 s23, s22, 31
	s_lshl_b64 s[0:1], s[22:23], 1
	s_add_u32 s0, s6, s0
	s_addc_u32 s1, s7, s1
	v_lshl_add_u64 v[6:7], v[6:7], 1, s[0:1]
	global_load_ushort v6, v[6:7], off
	v_lshlrev_b32_e32 v1, 1, v0
	v_cndmask_b32_e64 v7, 0, 1, s[20:21]
	v_cmp_ne_u32_e64 s[0:1], 1, v7
	s_andn2_b64 vcc, exec, s[20:21]
	s_waitcnt vmcnt(0)
	ds_write_b16 v1, v6
	v_mov_b64_e32 v[6:7], v[2:3]
	s_cbranch_vccnz .LBB25_5
; %bb.4:
	global_load_dword v6, v[4:5], off
	s_waitcnt vmcnt(0)
	v_ashrrev_i32_e32 v7, 31, v6
.LBB25_5:
	s_add_i32 s20, s22, s17
	s_ashr_i32 s21, s20, 31
	s_lshl_b64 s[22:23], s[20:21], 1
	s_add_u32 s22, s6, s22
	s_addc_u32 s23, s7, s23
	v_lshl_add_u64 v[6:7], v[6:7], 1, s[22:23]
	global_load_ushort v6, v[6:7], off
	s_and_b64 vcc, exec, s[0:1]
	s_waitcnt vmcnt(0)
	ds_write_b16 v1, v6 offset:256
	s_cbranch_vccnz .LBB25_7
; %bb.6:
	global_load_dword v2, v[4:5], off
	s_waitcnt vmcnt(0)
	v_ashrrev_i32_e32 v3, 31, v2
.LBB25_7:
	s_add_i32 s0, s20, s17
	s_ashr_i32 s1, s0, 31
	s_lshl_b64 s[0:1], s[0:1], 1
	s_add_u32 s0, s6, s0
	s_addc_u32 s1, s7, s1
	v_lshl_add_u64 v[2:3], v[2:3], 1, s[0:1]
	global_load_ushort v2, v[2:3], off
	s_waitcnt vmcnt(0)
	ds_write_b16 v1, v2 offset:512
.LBB25_8:
	s_or_b64 exec, exec, s[4:5]
	v_lshlrev_b32_e32 v1, 2, v0
	v_lshl_add_u32 v2, s2, 9, v1
	v_cmp_gt_i32_e32 vcc, s16, v2
	s_and_saveexec_b64 s[0:1], vcc
	s_cbranch_execz .LBB25_26
; %bb.9:
	s_abs_i32 s0, s18
	v_cvt_f32_u32_e32 v1, s0
	v_mov_b32_e32 v5, 0
	s_cmp_ge_i32 s25, s26
	v_mov_b32_e32 v4, v5
	v_rcp_iflag_f32_e32 v1, v1
	v_mov_b32_e32 v31, v5
	v_mov_b32_e32 v11, v5
	;; [unrolled: 1-line block ×3, first 2 shown]
	v_mul_f32_e32 v1, 0x4f7ffffe, v1
	v_cvt_u32_f32_e32 v1, v1
	v_mov_b32_e32 v30, v5
	v_mov_b32_e32 v33, v5
	v_mov_b32_e32 v32, v5
	v_readfirstlane_b32 s1, v1
	v_mov_b32_e32 v35, v5
	v_mov_b32_e32 v34, v5
	;; [unrolled: 1-line block ×4, first 2 shown]
	s_waitcnt lgkmcnt(0)
	s_barrier
	s_cbranch_scc1 .LBB25_14
; %bb.10:
	s_sub_i32 s5, 0, s0
	s_mul_i32 s5, s5, s1
	s_mul_hi_u32 s5, s1, s5
	s_abs_i32 s4, s17
	s_add_i32 s1, s1, s5
	s_ashr_i32 s2, s17, 31
	s_ashr_i32 s3, s18, 31
	s_mul_hi_u32 s1, s4, s1
	s_xor_b32 s2, s2, s3
	s_mul_i32 s3, s1, s0
	s_sub_i32 s3, s4, s3
	s_add_i32 s4, s1, 1
	s_sub_i32 s5, s3, s0
	s_cmp_ge_u32 s3, s0
	s_cselect_b32 s1, s4, s1
	s_cselect_b32 s3, s5, s3
	s_add_i32 s4, s1, 1
	s_cmp_ge_u32 s3, s0
	s_cselect_b32 s0, s4, s1
	s_xor_b32 s0, s0, s2
	s_sub_i32 s4, s0, s2
	v_cvt_f32_u32_e32 v1, s4
	s_bitcmp1_b32 s19, 0
	s_cselect_b64 s[0:1], -1, 0
	s_sub_i32 s2, 0, s4
	v_rcp_iflag_f32_e32 v1, v1
	s_xor_b64 s[0:1], s[0:1], -1
	v_ashrrev_i32_e32 v3, 31, v2
	v_lshrrev_b32_e32 v4, 29, v3
	v_mul_f32_e32 v1, 0x4f7ffffe, v1
	v_cvt_u32_f32_e32 v1, v1
	v_add_u32_e32 v4, v2, v4
	v_ashrrev_i32_e32 v28, 3, v4
	v_cndmask_b32_e64 v40, 0, 1, s[0:1]
	v_readfirstlane_b32 s3, v1
	s_mul_i32 s2, s2, s3
	s_mul_hi_u32 s2, s3, s2
	s_add_i32 s3, s3, s2
	s_mul_hi_u32 s2, s25, s3
	s_mul_i32 s3, s2, s4
	s_sub_i32 s3, s25, s3
	s_add_i32 s5, s2, 1
	s_sub_i32 s6, s3, s4
	s_cmp_ge_u32 s3, s4
	s_cselect_b32 s2, s5, s2
	s_cselect_b32 s3, s6, s3
	s_add_i32 s5, s2, 1
	s_cmp_ge_u32 s3, s4
	s_cselect_b32 s5, s5, s2
	s_mul_i32 s2, s5, s16
	s_ashr_i32 s3, s2, 31
	s_lshr_b32 s3, s3, 29
	v_add_u32_e32 v4, s2, v2
	s_add_i32 s3, s2, s3
	v_ashrrev_i32_e32 v5, 31, v4
	s_ashr_i32 s3, s3, 3
	v_lshl_add_u64 v[4:5], v[4:5], 1, s[12:13]
	global_load_dwordx2 v[6:7], v[4:5], off
	v_add_u32_e32 v4, s3, v28
	v_ashrrev_i32_e32 v5, 31, v4
	v_lshl_add_u64 v[4:5], v[4:5], 2, s[10:11]
	global_load_dword v8, v[4:5], off
	s_lshr_b32 s0, s25, 3
	s_mul_i32 s0, s16, s0
	s_ashr_i32 s1, s0, 31
	s_lshl_b64 s[0:1], s[0:1], 2
	s_add_u32 s0, s8, s0
	v_lshlrev_b32_e32 v9, 4, v0
	s_addc_u32 s1, s9, s1
	v_lshl_add_u64 v[0:1], v[2:3], 2, s[0:1]
	v_and_b32_e32 v39, 16, v9
	s_mov_b32 s18, 0x10001
	v_mov_b32_e32 v36, 0xe400e400
	s_mov_b32 s7, 0xd400
	v_mov_b32_e32 v4, 0
	s_ashr_i32 s17, s16, 31
	s_mov_b32 s6, 0
	s_movk_i32 s19, 0x2c00
	v_mov_b32_e32 v5, v4
	v_mov_b32_e32 v37, v4
	;; [unrolled: 1-line block ×10, first 2 shown]
	s_add_i32 s8, s4, s25
	s_lshl_b64 s[0:1], s[16:17], 4
	s_lshl_b64 s[2:3], s[16:17], 2
	v_mov_b32_e32 v31, v4
	s_waitcnt vmcnt(1)
	v_cvt_f32_f16_e32 v41, v6
	v_cvt_f32_f16_sdwa v42, v6 dst_sel:DWORD dst_unused:UNUSED_PAD src0_sel:WORD_1
	v_cvt_f32_f16_e32 v6, v7
	v_cvt_f32_f16_sdwa v7, v7 dst_sel:DWORD dst_unused:UNUSED_PAD src0_sel:WORD_1
	s_waitcnt vmcnt(0)
	v_lshrrev_b32_e32 v3, v9, v8
	v_lshrrev_b32_e32 v8, 12, v3
	;; [unrolled: 1-line block ×4, first 2 shown]
	v_and_b32_e32 v3, 15, v3
	v_and_b32_e32 v8, 15, v8
	;; [unrolled: 1-line block ×4, first 2 shown]
	v_add_u32_e32 v3, v3, v40
	v_add_u32_e32 v9, v9, v40
	;; [unrolled: 1-line block ×4, first 2 shown]
	v_cvt_f32_ubyte0_e32 v12, v3
	v_mad_u32_u24 v43, v3, s18, v36
	v_cvt_f32_ubyte0_e32 v3, v8
	v_cvt_f32_ubyte0_e32 v13, v9
	v_mad_u32_u24 v46, v8, s18, v36
	v_cvt_f32_ubyte0_e32 v8, v10
	v_cvt_pk_f16_f32 v3, v13, v3
	v_cvt_pk_f16_f32 v8, v12, v8
	v_pk_add_f16 v3, v3, s7 op_sel_hi:[1,0] neg_lo:[1,0] neg_hi:[1,0]
	v_pk_add_f16 v12, v8, s7 op_sel_hi:[1,0] neg_lo:[1,0] neg_hi:[1,0]
	v_mad_u32_u24 v44, v9, s18, v36
	v_mad_u32_u24 v45, v10, s18, v36
	v_mul_u32_u24_sdwa v10, v3, s18 dst_sel:DWORD dst_unused:UNUSED_PAD src0_sel:WORD_0 src1_sel:DWORD
	v_mul_u32_u24_sdwa v9, v3, s18 dst_sel:DWORD dst_unused:UNUSED_PAD src0_sel:WORD_1 src1_sel:DWORD
	v_mul_u32_u24_sdwa v8, v12, s18 dst_sel:DWORD dst_unused:UNUSED_PAD src0_sel:WORD_0 src1_sel:DWORD
	v_mul_u32_u24_sdwa v3, v12, s18 dst_sel:DWORD dst_unused:UNUSED_PAD src0_sel:WORD_1 src1_sel:DWORD
	s_branch .LBB25_12
.LBB25_11:                              ;   in Loop: Header=BB25_12 Depth=1
	global_load_dwordx4 v[22:25], v[0:1], off
	s_add_i32 s25, s25, 32
	s_waitcnt vmcnt(0)
	v_lshrrev_b32_e32 v14, 8, v22
	v_and_b32_e32 v12, 0xf000f, v22
	v_and_b32_e32 v13, 0xf000f0, v22
	;; [unrolled: 1-line block ×4, first 2 shown]
	v_lshrrev_b32_e32 v18, 8, v23
	v_or_b32_e32 v12, 0x64006400, v12
	v_or_b32_e32 v13, 0x64006400, v13
	;; [unrolled: 1-line block ×4, first 2 shown]
	v_and_b32_e32 v19, 0xf000f, v18
	v_and_b32_e32 v18, 0xf000f0, v18
	v_lshrrev_b32_e32 v22, 8, v24
	v_pk_add_f16 v14, v43, v12
	v_pk_fma_f16 v15, v13, s19, v8 op_sel_hi:[1,0,1]
	v_pk_add_f16 v12, v43, v16
	v_pk_fma_f16 v13, v17, s19, v8 op_sel_hi:[1,0,1]
	v_and_b32_e32 v16, 0xf000f, v23
	v_and_b32_e32 v17, 0xf000f0, v23
	v_or_b32_e32 v19, 0x64006400, v19
	v_or_b32_e32 v20, 0x64006400, v18
	v_and_b32_e32 v23, 0xf000f, v22
	v_and_b32_e32 v22, 0xf000f0, v22
	v_pk_add_f16 v18, v45, v19
	v_pk_fma_f16 v19, v20, s19, v3 op_sel_hi:[1,0,1]
	v_and_b32_e32 v20, 0xf000f, v24
	v_and_b32_e32 v21, 0xf000f0, v24
	v_or_b32_e32 v23, 0x64006400, v23
	v_or_b32_e32 v24, 0x64006400, v22
	v_pk_add_f16 v22, v44, v23
	v_pk_fma_f16 v23, v24, s19, v10 op_sel_hi:[1,0,1]
	v_and_b32_e32 v24, 0xf000f, v25
	v_and_b32_e32 v26, 0xf000f0, v25
	v_lshrrev_b32_e32 v25, 8, v25
	v_or_b32_e32 v26, 0x64006400, v26
	v_and_b32_e32 v27, 0xf000f, v25
	v_and_b32_e32 v25, 0xf000f0, v25
	v_or_b32_e32 v24, 0x64006400, v24
	v_or_b32_e32 v25, 0x64006400, v25
	v_pk_fma_f16 v50, v26, s19, v9 op_sel_hi:[1,0,1]
	v_mov_b32_e32 v26, s6
	v_pk_add_f16 v47, v46, v24
	v_pk_fma_f16 v51, v25, s19, v9 op_sel_hi:[1,0,1]
	ds_read2_b32 v[24:25], v26 offset1:1
	v_or_b32_e32 v16, 0x64006400, v16
	v_or_b32_e32 v17, 0x64006400, v17
	v_pk_add_f16 v16, v45, v16
	v_pk_fma_f16 v17, v17, s19, v3 op_sel_hi:[1,0,1]
	s_waitcnt lgkmcnt(0)
	v_pk_fma_f16 v48, v14, v24, 0
	v_or_b32_e32 v20, 0x64006400, v20
	v_pk_fma_f16 v52, v15, v25, v48
	ds_read2_b32 v[48:49], v26 offset0:2 offset1:3
	v_pk_add_f16 v20, v44, v20
	v_or_b32_e32 v27, 0x64006400, v27
	v_pk_add_f16 v27, v46, v27
	v_or_b32_e32 v21, 0x64006400, v21
	s_waitcnt lgkmcnt(0)
	v_pk_fma_f16 v52, v12, v48, v52
	v_pk_fma_f16 v21, v21, s19, v10 op_sel_hi:[1,0,1]
	v_pk_fma_f16 v52, v13, v49, v52
	s_add_i32 s6, s6, 64
	v_cvt_f32_f16_e32 v53, v52
	v_cvt_f32_f16_sdwa v52, v52 dst_sel:DWORD dst_unused:UNUSED_PAD src0_sel:WORD_1
	s_cmp_ge_i32 s25, s26
	v_add_f32_e32 v52, v52, v53
	v_fmac_f32_e32 v37, v52, v41
	v_pk_fma_f16 v52, v16, v24, 0
	s_nop 0
	v_pk_fma_f16 v52, v17, v25, v52
	s_nop 0
	;; [unrolled: 2-line block ×4, first 2 shown]
	v_cvt_f32_f16_e32 v53, v52
	v_cvt_f32_f16_sdwa v52, v52 dst_sel:DWORD dst_unused:UNUSED_PAD src0_sel:WORD_1
	v_add_f32_e32 v52, v52, v53
	v_fmac_f32_e32 v38, v52, v42
	v_pk_fma_f16 v52, v20, v24, 0
	v_pk_fma_f16 v24, v47, v24, 0
	;; [unrolled: 1-line block ×8, first 2 shown]
	v_cvt_f32_f16_e32 v53, v52
	v_cvt_f32_f16_e32 v25, v24
	v_cvt_f32_f16_sdwa v24, v24 dst_sel:DWORD dst_unused:UNUSED_PAD src0_sel:WORD_1
	v_cvt_f32_f16_sdwa v52, v52 dst_sel:DWORD dst_unused:UNUSED_PAD src0_sel:WORD_1
	v_add_f32_e32 v24, v24, v25
	v_fmac_f32_e32 v35, v24, v7
	ds_read2_b32 v[24:25], v26 offset0:64 offset1:65
	v_add_f32_e32 v52, v52, v53
	v_fmac_f32_e32 v34, v52, v6
	s_waitcnt lgkmcnt(0)
	v_pk_fma_f16 v48, v14, v24, 0
	s_nop 0
	v_pk_fma_f16 v52, v15, v25, v48
	ds_read2_b32 v[48:49], v26 offset0:66 offset1:67
	s_waitcnt lgkmcnt(0)
	v_pk_fma_f16 v52, v12, v48, v52
	s_nop 0
	v_pk_fma_f16 v52, v13, v49, v52
	s_nop 0
	v_cvt_f32_f16_e32 v53, v52
	v_cvt_f32_f16_sdwa v52, v52 dst_sel:DWORD dst_unused:UNUSED_PAD src0_sel:WORD_1
	v_add_f32_e32 v52, v52, v53
	v_fmac_f32_e32 v32, v52, v41
	v_pk_fma_f16 v52, v16, v24, 0
	s_nop 0
	v_pk_fma_f16 v52, v17, v25, v52
	s_nop 0
	;; [unrolled: 2-line block ×4, first 2 shown]
	v_cvt_f32_f16_e32 v53, v52
	v_cvt_f32_f16_sdwa v52, v52 dst_sel:DWORD dst_unused:UNUSED_PAD src0_sel:WORD_1
	v_add_f32_e32 v52, v52, v53
	v_fmac_f32_e32 v33, v52, v42
	v_pk_fma_f16 v52, v20, v24, 0
	v_pk_fma_f16 v24, v47, v24, 0
	v_pk_fma_f16 v52, v21, v25, v52
	v_pk_fma_f16 v24, v50, v25, v24
	v_pk_fma_f16 v52, v22, v48, v52
	v_pk_fma_f16 v24, v27, v48, v24
	v_pk_fma_f16 v52, v23, v49, v52
	v_pk_fma_f16 v24, v51, v49, v24
	ds_read2_b32 v[48:49], v26 offset0:130 offset1:131
	v_cvt_f32_f16_e32 v25, v24
	v_cvt_f32_f16_sdwa v24, v24 dst_sel:DWORD dst_unused:UNUSED_PAD src0_sel:WORD_1
	v_cvt_f32_f16_e32 v53, v52
	v_cvt_f32_f16_sdwa v52, v52 dst_sel:DWORD dst_unused:UNUSED_PAD src0_sel:WORD_1
	v_add_f32_e32 v24, v24, v25
	v_fmac_f32_e32 v29, v24, v7
	ds_read2_b32 v[24:25], v26 offset0:128 offset1:129
	v_add_f32_e32 v52, v52, v53
	v_fmac_f32_e32 v30, v52, v6
	s_waitcnt lgkmcnt(0)
	v_pk_fma_f16 v14, v14, v24, 0
	s_nop 0
	v_pk_fma_f16 v14, v15, v25, v14
	s_nop 0
	;; [unrolled: 2-line block ×4, first 2 shown]
	v_cvt_f32_f16_e32 v13, v12
	v_cvt_f32_f16_sdwa v12, v12 dst_sel:DWORD dst_unused:UNUSED_PAD src0_sel:WORD_1
	v_add_f32_e32 v12, v12, v13
	v_fmac_f32_e32 v11, v12, v41
	v_pk_fma_f16 v12, v16, v24, 0
	s_nop 0
	v_pk_fma_f16 v12, v17, v25, v12
	s_nop 0
	v_pk_fma_f16 v12, v18, v48, v12
	s_nop 0
	v_pk_fma_f16 v12, v19, v49, v12
	s_nop 0
	v_cvt_f32_f16_e32 v13, v12
	v_cvt_f32_f16_sdwa v12, v12 dst_sel:DWORD dst_unused:UNUSED_PAD src0_sel:WORD_1
	v_add_f32_e32 v12, v12, v13
	v_fmac_f32_e32 v31, v12, v42
	v_pk_fma_f16 v12, v20, v24, 0
	s_nop 0
	v_pk_fma_f16 v12, v21, v25, v12
	v_lshl_add_u64 v[20:21], v[0:1], 0, s[2:3]
	global_load_dwordx4 v[16:19], v[20:21], off
	v_pk_fma_f16 v12, v22, v48, v12
	v_lshl_add_u64 v[0:1], v[0:1], 0, s[0:1]
	v_pk_fma_f16 v13, v23, v49, v12
	s_waitcnt vmcnt(0)
	v_and_b32_e32 v22, 0xf000f, v16
	v_and_b32_e32 v23, 0xf000f0, v16
	v_lshrrev_b32_e32 v16, 8, v16
	v_cvt_f32_f16_e32 v12, v13
	v_cvt_f32_f16_sdwa v14, v13 dst_sel:DWORD dst_unused:UNUSED_PAD src0_sel:WORD_1
	v_pk_fma_f16 v13, v47, v24, 0
	v_and_b32_e32 v24, 0xf000f, v16
	v_and_b32_e32 v16, 0xf000f0, v16
	v_pk_fma_f16 v13, v50, v25, v13
	v_or_b32_e32 v22, 0x64006400, v22
	v_or_b32_e32 v16, 0x64006400, v16
	v_pk_fma_f16 v13, v27, v48, v13
	v_or_b32_e32 v23, 0x64006400, v23
	v_pk_add_f16 v25, v43, v22
	v_pk_fma_f16 v48, v16, s19, v8 op_sel_hi:[1,0,1]
	v_and_b32_e32 v16, 0xf000f, v17
	v_and_b32_e32 v22, 0xf000f0, v17
	v_lshrrev_b32_e32 v17, 8, v17
	v_pk_fma_f16 v27, v23, s19, v8 op_sel_hi:[1,0,1]
	v_and_b32_e32 v23, 0xf000f, v17
	v_and_b32_e32 v17, 0xf000f0, v17
	v_or_b32_e32 v16, 0x64006400, v16
	v_or_b32_e32 v17, 0x64006400, v17
	v_pk_fma_f16 v13, v51, v49, v13
	v_pk_add_f16 v49, v45, v16
	v_pk_fma_f16 v52, v17, s19, v3 op_sel_hi:[1,0,1]
	v_and_b32_e32 v16, 0xf000f, v18
	v_and_b32_e32 v17, 0xf000f0, v18
	v_or_b32_e32 v16, 0x64006400, v16
	v_or_b32_e32 v17, 0x64006400, v17
	v_pk_add_f16 v53, v44, v16
	v_pk_fma_f16 v54, v17, s19, v10 op_sel_hi:[1,0,1]
	v_and_b32_e32 v16, 0xf000f, v19
	v_and_b32_e32 v17, 0xf000f0, v19
	v_or_b32_e32 v22, 0x64006400, v22
	v_lshrrev_b32_e32 v18, 8, v18
	v_or_b32_e32 v16, 0x64006400, v16
	v_or_b32_e32 v17, 0x64006400, v17
	v_pk_fma_f16 v50, v22, s19, v3 op_sel_hi:[1,0,1]
	v_and_b32_e32 v22, 0xf000f, v18
	v_and_b32_e32 v18, 0xf000f0, v18
	v_pk_add_f16 v57, v46, v16
	v_pk_fma_f16 v58, v17, s19, v9 op_sel_hi:[1,0,1]
	ds_read2_b32 v[16:17], v26 offset0:4 offset1:5
	v_or_b32_e32 v18, 0x64006400, v18
	v_pk_fma_f16 v56, v18, s19, v10 op_sel_hi:[1,0,1]
	v_lshrrev_b32_e32 v18, 8, v19
	v_and_b32_e32 v19, 0xf000f, v18
	v_and_b32_e32 v18, 0xf000f0, v18
	v_or_b32_e32 v18, 0x64006400, v18
	v_or_b32_e32 v22, 0x64006400, v22
	;; [unrolled: 1-line block ×3, first 2 shown]
	v_pk_fma_f16 v60, v18, s19, v9 op_sel_hi:[1,0,1]
	s_waitcnt lgkmcnt(0)
	v_pk_fma_f16 v18, v25, v16, 0
	v_pk_add_f16 v55, v44, v22
	v_pk_add_f16 v59, v46, v19
	v_pk_fma_f16 v22, v27, v17, v18
	ds_read2_b32 v[18:19], v26 offset0:6 offset1:7
	v_or_b32_e32 v24, 0x64006400, v24
	v_pk_add_f16 v47, v43, v24
	v_or_b32_e32 v23, 0x64006400, v23
	v_pk_add_f16 v51, v45, v23
	s_waitcnt lgkmcnt(0)
	v_pk_fma_f16 v22, v47, v18, v22
	v_cvt_f32_f16_sdwa v15, v13 dst_sel:DWORD dst_unused:UNUSED_PAD src0_sel:WORD_1
	v_pk_fma_f16 v22, v48, v19, v22
	v_cvt_f32_f16_e32 v13, v13
	v_cvt_f32_f16_e32 v23, v22
	v_cvt_f32_f16_sdwa v22, v22 dst_sel:DWORD dst_unused:UNUSED_PAD src0_sel:WORD_1
	v_pk_add_f32 v[12:13], v[12:13], v[14:15]
	s_nop 0
	v_pk_fma_f32 v[4:5], v[12:13], v[6:7], v[4:5]
	v_add_f32_e32 v22, v22, v23
	v_fmac_f32_e32 v37, v22, v41
	v_pk_fma_f16 v22, v49, v16, 0
	s_nop 0
	v_pk_fma_f16 v22, v50, v17, v22
	s_nop 0
	v_pk_fma_f16 v22, v51, v18, v22
	s_nop 0
	v_pk_fma_f16 v22, v52, v19, v22
	s_nop 0
	v_cvt_f32_f16_e32 v23, v22
	v_cvt_f32_f16_sdwa v22, v22 dst_sel:DWORD dst_unused:UNUSED_PAD src0_sel:WORD_1
	v_add_f32_e32 v22, v22, v23
	v_fmac_f32_e32 v38, v22, v42
	v_pk_fma_f16 v22, v53, v16, 0
	v_pk_fma_f16 v16, v57, v16, 0
	;; [unrolled: 1-line block ×8, first 2 shown]
	v_cvt_f32_f16_e32 v23, v22
	v_cvt_f32_f16_e32 v17, v16
	v_cvt_f32_f16_sdwa v16, v16 dst_sel:DWORD dst_unused:UNUSED_PAD src0_sel:WORD_1
	v_cvt_f32_f16_sdwa v22, v22 dst_sel:DWORD dst_unused:UNUSED_PAD src0_sel:WORD_1
	v_add_f32_e32 v16, v16, v17
	v_fmac_f32_e32 v35, v16, v7
	ds_read2_b32 v[16:17], v26 offset0:68 offset1:69
	v_add_f32_e32 v22, v22, v23
	v_fmac_f32_e32 v34, v22, v6
	s_waitcnt lgkmcnt(0)
	v_pk_fma_f16 v18, v25, v16, 0
	s_nop 0
	v_pk_fma_f16 v22, v27, v17, v18
	ds_read2_b32 v[18:19], v26 offset0:70 offset1:71
	s_waitcnt lgkmcnt(0)
	v_pk_fma_f16 v22, v47, v18, v22
	s_nop 0
	v_pk_fma_f16 v22, v48, v19, v22
	s_nop 0
	v_cvt_f32_f16_e32 v23, v22
	v_cvt_f32_f16_sdwa v22, v22 dst_sel:DWORD dst_unused:UNUSED_PAD src0_sel:WORD_1
	v_add_f32_e32 v22, v22, v23
	v_fmac_f32_e32 v32, v22, v41
	v_pk_fma_f16 v22, v49, v16, 0
	s_nop 0
	v_pk_fma_f16 v22, v50, v17, v22
	s_nop 0
	;; [unrolled: 2-line block ×4, first 2 shown]
	v_cvt_f32_f16_e32 v23, v22
	v_cvt_f32_f16_sdwa v22, v22 dst_sel:DWORD dst_unused:UNUSED_PAD src0_sel:WORD_1
	v_add_f32_e32 v22, v22, v23
	v_fmac_f32_e32 v33, v22, v42
	v_pk_fma_f16 v22, v53, v16, 0
	v_pk_fma_f16 v16, v57, v16, 0
	;; [unrolled: 1-line block ×8, first 2 shown]
	v_cvt_f32_f16_e32 v23, v22
	v_cvt_f32_f16_sdwa v22, v22 dst_sel:DWORD dst_unused:UNUSED_PAD src0_sel:WORD_1
	v_cvt_f32_f16_e32 v17, v16
	v_cvt_f32_f16_sdwa v16, v16 dst_sel:DWORD dst_unused:UNUSED_PAD src0_sel:WORD_1
	v_add_f32_e32 v22, v22, v23
	v_fmac_f32_e32 v30, v22, v6
	ds_read2_b32 v[22:23], v26 offset0:132 offset1:133
	v_add_f32_e32 v16, v16, v17
	v_fmac_f32_e32 v29, v16, v7
	s_waitcnt lgkmcnt(0)
	v_pk_fma_f16 v16, v25, v22, 0
	ds_read2_b32 v[24:25], v26 offset0:134 offset1:135
	v_pk_fma_f16 v16, v27, v23, v16
	s_waitcnt lgkmcnt(0)
	v_pk_fma_f16 v16, v47, v24, v16
	s_nop 0
	v_pk_fma_f16 v16, v48, v25, v16
	s_nop 0
	v_cvt_f32_f16_e32 v17, v16
	v_cvt_f32_f16_sdwa v16, v16 dst_sel:DWORD dst_unused:UNUSED_PAD src0_sel:WORD_1
	v_add_f32_e32 v16, v16, v17
	v_fmac_f32_e32 v11, v16, v41
	v_pk_fma_f16 v16, v49, v22, 0
	s_nop 0
	v_pk_fma_f16 v16, v50, v23, v16
	s_nop 0
	v_pk_fma_f16 v16, v51, v24, v16
	ds_read2_b32 v[50:51], v26 offset0:138 offset1:139
	v_pk_fma_f16 v16, v52, v25, v16
	s_nop 0
	v_cvt_f32_f16_e32 v17, v16
	v_cvt_f32_f16_sdwa v16, v16 dst_sel:DWORD dst_unused:UNUSED_PAD src0_sel:WORD_1
	v_add_f32_e32 v16, v16, v17
	v_fmac_f32_e32 v31, v16, v42
	v_pk_fma_f16 v16, v53, v22, 0
	s_nop 0
	v_pk_fma_f16 v16, v54, v23, v16
	s_nop 0
	;; [unrolled: 2-line block ×4, first 2 shown]
	v_cvt_f32_f16_e32 v16, v17
	v_cvt_f32_f16_sdwa v18, v17 dst_sel:DWORD dst_unused:UNUSED_PAD src0_sel:WORD_1
	v_pk_fma_f16 v17, v57, v22, 0
	s_nop 0
	v_pk_fma_f16 v17, v58, v23, v17
	s_nop 0
	;; [unrolled: 2-line block ×3, first 2 shown]
	v_pk_fma_f16 v17, v60, v25, v17
	v_lshl_add_u64 v[24:25], v[20:21], 0, s[2:3]
	global_load_dwordx4 v[20:23], v[24:25], off
	v_lshl_add_u64 v[24:25], v[24:25], 0, s[2:3]
	v_cvt_f32_f16_sdwa v19, v17 dst_sel:DWORD dst_unused:UNUSED_PAD src0_sel:WORD_1
	v_cvt_f32_f16_e32 v17, v17
	v_pk_add_f32 v[12:13], v[16:17], v[18:19]
	s_nop 0
	v_pk_fma_f32 v[4:5], v[12:13], v[6:7], v[4:5]
	s_waitcnt vmcnt(0)
	v_and_b32_e32 v27, 0xf000f, v20
	v_and_b32_e32 v47, 0xf000f0, v20
	v_lshrrev_b32_e32 v20, 8, v20
	v_and_b32_e32 v48, 0xf000f, v20
	v_and_b32_e32 v20, 0xf000f0, v20
	v_or_b32_e32 v48, 0x64006400, v48
	v_or_b32_e32 v20, 0x64006400, v20
	v_pk_add_f16 v52, v43, v48
	v_pk_fma_f16 v53, v20, s19, v8 op_sel_hi:[1,0,1]
	v_and_b32_e32 v20, 0xf000f, v21
	v_and_b32_e32 v48, 0xf000f0, v21
	v_lshrrev_b32_e32 v21, 8, v21
	v_and_b32_e32 v49, 0xf000f, v21
	v_and_b32_e32 v21, 0xf000f0, v21
	v_or_b32_e32 v20, 0x64006400, v20
	v_or_b32_e32 v21, 0x64006400, v21
	v_pk_add_f16 v54, v45, v20
	v_pk_fma_f16 v57, v21, s19, v3 op_sel_hi:[1,0,1]
	v_and_b32_e32 v20, 0xf000f, v22
	v_and_b32_e32 v21, 0xf000f0, v22
	v_or_b32_e32 v20, 0x64006400, v20
	v_or_b32_e32 v21, 0x64006400, v21
	v_pk_add_f16 v58, v44, v20
	v_pk_fma_f16 v59, v21, s19, v10 op_sel_hi:[1,0,1]
	v_and_b32_e32 v20, 0xf000f, v23
	v_and_b32_e32 v21, 0xf000f0, v23
	v_or_b32_e32 v48, 0x64006400, v48
	v_lshrrev_b32_e32 v22, 8, v22
	v_or_b32_e32 v20, 0x64006400, v20
	v_or_b32_e32 v21, 0x64006400, v21
	v_pk_fma_f16 v55, v48, s19, v3 op_sel_hi:[1,0,1]
	v_and_b32_e32 v48, 0xf000f, v22
	v_and_b32_e32 v22, 0xf000f0, v22
	v_pk_add_f16 v62, v46, v20
	v_pk_fma_f16 v63, v21, s19, v9 op_sel_hi:[1,0,1]
	ds_read2_b32 v[20:21], v26 offset0:8 offset1:9
	v_or_b32_e32 v22, 0x64006400, v22
	v_pk_fma_f16 v61, v22, s19, v10 op_sel_hi:[1,0,1]
	v_lshrrev_b32_e32 v22, 8, v23
	v_or_b32_e32 v27, 0x64006400, v27
	v_and_b32_e32 v23, 0xf000f, v22
	v_and_b32_e32 v22, 0xf000f0, v22
	v_or_b32_e32 v47, 0x64006400, v47
	v_pk_add_f16 v27, v43, v27
	v_or_b32_e32 v22, 0x64006400, v22
	v_pk_fma_f16 v47, v47, s19, v8 op_sel_hi:[1,0,1]
	v_or_b32_e32 v48, 0x64006400, v48
	v_or_b32_e32 v23, 0x64006400, v23
	v_pk_fma_f16 v65, v22, s19, v9 op_sel_hi:[1,0,1]
	s_waitcnt lgkmcnt(0)
	v_pk_fma_f16 v22, v27, v20, 0
	v_pk_add_f16 v60, v44, v48
	v_pk_add_f16 v64, v46, v23
	v_pk_fma_f16 v48, v47, v21, v22
	ds_read2_b32 v[22:23], v26 offset0:10 offset1:11
	v_or_b32_e32 v49, 0x64006400, v49
	v_pk_add_f16 v56, v45, v49
	s_waitcnt lgkmcnt(0)
	v_pk_fma_f16 v48, v52, v22, v48
	s_nop 0
	v_pk_fma_f16 v48, v53, v23, v48
	s_nop 0
	v_cvt_f32_f16_e32 v49, v48
	v_cvt_f32_f16_sdwa v48, v48 dst_sel:DWORD dst_unused:UNUSED_PAD src0_sel:WORD_1
	v_add_f32_e32 v48, v48, v49
	v_fmac_f32_e32 v37, v48, v41
	v_pk_fma_f16 v48, v54, v20, 0
	s_nop 0
	v_pk_fma_f16 v48, v55, v21, v48
	s_nop 0
	;; [unrolled: 2-line block ×4, first 2 shown]
	v_cvt_f32_f16_e32 v49, v48
	v_cvt_f32_f16_sdwa v48, v48 dst_sel:DWORD dst_unused:UNUSED_PAD src0_sel:WORD_1
	v_add_f32_e32 v48, v48, v49
	v_fmac_f32_e32 v38, v48, v42
	v_pk_fma_f16 v48, v58, v20, 0
	v_pk_fma_f16 v20, v62, v20, 0
	;; [unrolled: 1-line block ×8, first 2 shown]
	v_cvt_f32_f16_e32 v49, v48
	v_cvt_f32_f16_e32 v21, v20
	v_cvt_f32_f16_sdwa v20, v20 dst_sel:DWORD dst_unused:UNUSED_PAD src0_sel:WORD_1
	v_cvt_f32_f16_sdwa v48, v48 dst_sel:DWORD dst_unused:UNUSED_PAD src0_sel:WORD_1
	v_add_f32_e32 v20, v20, v21
	v_fmac_f32_e32 v35, v20, v7
	ds_read2_b32 v[20:21], v26 offset0:72 offset1:73
	v_add_f32_e32 v48, v48, v49
	v_fmac_f32_e32 v34, v48, v6
	s_waitcnt lgkmcnt(0)
	v_pk_fma_f16 v22, v27, v20, 0
	s_nop 0
	v_pk_fma_f16 v48, v47, v21, v22
	ds_read2_b32 v[22:23], v26 offset0:74 offset1:75
	s_waitcnt lgkmcnt(0)
	v_pk_fma_f16 v48, v52, v22, v48
	s_nop 0
	v_pk_fma_f16 v48, v53, v23, v48
	s_nop 0
	v_cvt_f32_f16_e32 v49, v48
	v_cvt_f32_f16_sdwa v48, v48 dst_sel:DWORD dst_unused:UNUSED_PAD src0_sel:WORD_1
	v_add_f32_e32 v48, v48, v49
	v_fmac_f32_e32 v32, v48, v41
	v_pk_fma_f16 v48, v54, v20, 0
	s_nop 0
	v_pk_fma_f16 v48, v55, v21, v48
	s_nop 0
	;; [unrolled: 2-line block ×4, first 2 shown]
	v_cvt_f32_f16_e32 v49, v48
	v_cvt_f32_f16_sdwa v48, v48 dst_sel:DWORD dst_unused:UNUSED_PAD src0_sel:WORD_1
	v_add_f32_e32 v48, v48, v49
	v_fmac_f32_e32 v33, v48, v42
	v_pk_fma_f16 v48, v58, v20, 0
	v_pk_fma_f16 v20, v62, v20, 0
	;; [unrolled: 1-line block ×8, first 2 shown]
	v_cvt_f32_f16_e32 v49, v48
	v_cvt_f32_f16_sdwa v48, v48 dst_sel:DWORD dst_unused:UNUSED_PAD src0_sel:WORD_1
	v_cvt_f32_f16_e32 v21, v20
	v_cvt_f32_f16_sdwa v20, v20 dst_sel:DWORD dst_unused:UNUSED_PAD src0_sel:WORD_1
	v_add_f32_e32 v48, v48, v49
	v_fmac_f32_e32 v30, v48, v6
	ds_read2_b32 v[48:49], v26 offset0:136 offset1:137
	v_add_f32_e32 v20, v20, v21
	v_fmac_f32_e32 v29, v20, v7
	s_waitcnt lgkmcnt(0)
	v_pk_fma_f16 v20, v27, v48, 0
	s_nop 0
	v_pk_fma_f16 v20, v47, v49, v20
	s_nop 0
	;; [unrolled: 2-line block ×4, first 2 shown]
	v_cvt_f32_f16_e32 v21, v20
	v_cvt_f32_f16_sdwa v20, v20 dst_sel:DWORD dst_unused:UNUSED_PAD src0_sel:WORD_1
	v_add_f32_e32 v20, v20, v21
	v_fmac_f32_e32 v11, v20, v41
	v_pk_fma_f16 v20, v54, v48, 0
	s_nop 0
	v_pk_fma_f16 v20, v55, v49, v20
	s_nop 0
	;; [unrolled: 2-line block ×4, first 2 shown]
	v_cvt_f32_f16_e32 v21, v20
	v_cvt_f32_f16_sdwa v20, v20 dst_sel:DWORD dst_unused:UNUSED_PAD src0_sel:WORD_1
	v_add_f32_e32 v20, v20, v21
	v_fmac_f32_e32 v31, v20, v42
	v_pk_fma_f16 v20, v58, v48, 0
	s_nop 0
	v_pk_fma_f16 v20, v59, v49, v20
	s_nop 0
	;; [unrolled: 2-line block ×4, first 2 shown]
	v_cvt_f32_f16_e32 v20, v21
	v_cvt_f32_f16_sdwa v22, v21 dst_sel:DWORD dst_unused:UNUSED_PAD src0_sel:WORD_1
	v_pk_fma_f16 v21, v62, v48, 0
	s_nop 0
	v_pk_fma_f16 v21, v63, v49, v21
	s_nop 0
	;; [unrolled: 2-line block ×3, first 2 shown]
	v_pk_fma_f16 v21, v65, v51, v21
	global_load_dwordx4 v[62:65], v[24:25], off
	v_cvt_f32_f16_sdwa v23, v21 dst_sel:DWORD dst_unused:UNUSED_PAD src0_sel:WORD_1
	v_cvt_f32_f16_e32 v21, v21
	v_pk_add_f32 v[12:13], v[20:21], v[22:23]
	s_nop 0
	v_pk_fma_f32 v[4:5], v[12:13], v[6:7], v[4:5]
	s_waitcnt vmcnt(0)
	v_lshrrev_b32_e32 v27, 8, v62
	v_and_b32_e32 v47, 0xf000f, v27
	v_and_b32_e32 v24, 0xf000f, v62
	;; [unrolled: 1-line block ×3, first 2 shown]
	v_or_b32_e32 v47, 0x64006400, v47
	v_and_b32_e32 v27, 0xf000f0, v27
	v_or_b32_e32 v24, 0x64006400, v24
	v_or_b32_e32 v25, 0x64006400, v25
	v_or_b32_e32 v48, 0x64006400, v27
	v_pk_add_f16 v57, v43, v47
	v_lshrrev_b32_e32 v47, 8, v63
	v_pk_add_f16 v27, v43, v24
	v_pk_fma_f16 v61, v25, s19, v8 op_sel_hi:[1,0,1]
	v_pk_fma_f16 v58, v48, s19, v8 op_sel_hi:[1,0,1]
	v_and_b32_e32 v24, 0xf000f, v63
	v_and_b32_e32 v25, 0xf000f0, v63
	;; [unrolled: 1-line block ×4, first 2 shown]
	v_or_b32_e32 v24, 0x64006400, v24
	v_or_b32_e32 v25, 0x64006400, v25
	;; [unrolled: 1-line block ×4, first 2 shown]
	v_pk_add_f16 v53, v45, v24
	v_pk_fma_f16 v54, v25, s19, v3 op_sel_hi:[1,0,1]
	v_pk_fma_f16 v52, v47, s19, v3 op_sel_hi:[1,0,1]
	v_and_b32_e32 v24, 0xf000f, v64
	v_and_b32_e32 v25, 0xf000f0, v64
	v_lshrrev_b32_e32 v47, 8, v64
	v_pk_add_f16 v51, v45, v48
	v_or_b32_e32 v24, 0x64006400, v24
	v_or_b32_e32 v25, 0x64006400, v25
	v_and_b32_e32 v48, 0xf000f, v47
	v_and_b32_e32 v47, 0xf000f0, v47
	v_or_b32_e32 v49, 0x64006400, v48
	v_or_b32_e32 v50, 0x64006400, v47
	v_pk_add_f16 v47, v44, v24
	v_pk_fma_f16 v48, v25, s19, v10 op_sel_hi:[1,0,1]
	v_and_b32_e32 v24, 0xf000f, v65
	v_and_b32_e32 v25, 0xf000f0, v65
	v_or_b32_e32 v24, 0x64006400, v24
	v_or_b32_e32 v25, 0x64006400, v25
	v_pk_add_f16 v59, v46, v24
	v_pk_fma_f16 v60, v25, s19, v9 op_sel_hi:[1,0,1]
	ds_read2_b32 v[24:25], v26 offset0:12 offset1:13
	v_lshrrev_b32_e32 v55, 8, v65
	v_and_b32_e32 v56, 0xf000f, v55
	v_and_b32_e32 v55, 0xf000f0, v55
	v_or_b32_e32 v56, 0x64006400, v56
	v_or_b32_e32 v62, 0x64006400, v55
	v_pk_add_f16 v55, v46, v56
	v_pk_fma_f16 v56, v62, s19, v9 op_sel_hi:[1,0,1]
	s_waitcnt lgkmcnt(0)
	v_pk_fma_f16 v62, v27, v24, 0
	v_pk_add_f16 v49, v44, v49
	v_pk_fma_f16 v64, v61, v25, v62
	ds_read2_b32 v[62:63], v26 offset0:14 offset1:15
	v_pk_fma_f16 v50, v50, s19, v10 op_sel_hi:[1,0,1]
	s_waitcnt lgkmcnt(0)
	v_pk_fma_f16 v64, v57, v62, v64
	s_nop 0
	v_pk_fma_f16 v64, v58, v63, v64
	s_nop 0
	v_cvt_f32_f16_e32 v65, v64
	v_cvt_f32_f16_sdwa v64, v64 dst_sel:DWORD dst_unused:UNUSED_PAD src0_sel:WORD_1
	v_add_f32_e32 v64, v64, v65
	v_fmac_f32_e32 v37, v64, v41
	v_pk_fma_f16 v64, v53, v24, 0
	s_nop 0
	v_pk_fma_f16 v64, v54, v25, v64
	s_nop 0
	;; [unrolled: 2-line block ×4, first 2 shown]
	v_cvt_f32_f16_e32 v65, v64
	v_cvt_f32_f16_sdwa v64, v64 dst_sel:DWORD dst_unused:UNUSED_PAD src0_sel:WORD_1
	v_add_f32_e32 v64, v64, v65
	v_fmac_f32_e32 v38, v64, v42
	v_pk_fma_f16 v64, v47, v24, 0
	v_pk_fma_f16 v24, v59, v24, 0
	;; [unrolled: 1-line block ×8, first 2 shown]
	v_cvt_f32_f16_e32 v65, v64
	v_cvt_f32_f16_e32 v25, v24
	v_cvt_f32_f16_sdwa v24, v24 dst_sel:DWORD dst_unused:UNUSED_PAD src0_sel:WORD_1
	v_cvt_f32_f16_sdwa v64, v64 dst_sel:DWORD dst_unused:UNUSED_PAD src0_sel:WORD_1
	v_add_f32_e32 v24, v24, v25
	v_fmac_f32_e32 v35, v24, v7
	ds_read2_b32 v[24:25], v26 offset0:76 offset1:77
	v_add_f32_e32 v64, v64, v65
	v_fmac_f32_e32 v34, v64, v6
	s_waitcnt lgkmcnt(0)
	v_pk_fma_f16 v62, v27, v24, 0
	s_nop 0
	v_pk_fma_f16 v64, v61, v25, v62
	ds_read2_b32 v[62:63], v26 offset0:78 offset1:79
	s_waitcnt lgkmcnt(0)
	v_pk_fma_f16 v64, v57, v62, v64
	s_nop 0
	v_pk_fma_f16 v64, v58, v63, v64
	s_nop 0
	v_cvt_f32_f16_e32 v65, v64
	v_cvt_f32_f16_sdwa v64, v64 dst_sel:DWORD dst_unused:UNUSED_PAD src0_sel:WORD_1
	v_add_f32_e32 v64, v64, v65
	v_fmac_f32_e32 v32, v64, v41
	v_pk_fma_f16 v64, v53, v24, 0
	s_nop 0
	v_pk_fma_f16 v64, v54, v25, v64
	s_nop 0
	;; [unrolled: 2-line block ×4, first 2 shown]
	v_cvt_f32_f16_e32 v65, v64
	v_cvt_f32_f16_sdwa v64, v64 dst_sel:DWORD dst_unused:UNUSED_PAD src0_sel:WORD_1
	v_add_f32_e32 v64, v64, v65
	v_fmac_f32_e32 v33, v64, v42
	v_pk_fma_f16 v64, v47, v24, 0
	v_pk_fma_f16 v24, v59, v24, 0
	;; [unrolled: 1-line block ×8, first 2 shown]
	v_cvt_f32_f16_e32 v65, v64
	v_cvt_f32_f16_e32 v25, v24
	v_cvt_f32_f16_sdwa v24, v24 dst_sel:DWORD dst_unused:UNUSED_PAD src0_sel:WORD_1
	v_cvt_f32_f16_sdwa v64, v64 dst_sel:DWORD dst_unused:UNUSED_PAD src0_sel:WORD_1
	v_add_f32_e32 v24, v24, v25
	v_fmac_f32_e32 v29, v24, v7
	ds_read2_b32 v[24:25], v26 offset0:140 offset1:141
	v_add_f32_e32 v64, v64, v65
	v_fmac_f32_e32 v30, v64, v6
	s_waitcnt lgkmcnt(0)
	v_pk_fma_f16 v27, v27, v24, 0
	s_nop 0
	v_pk_fma_f16 v61, v61, v25, v27
	ds_read2_b32 v[26:27], v26 offset0:142 offset1:143
	v_pk_fma_f16 v53, v53, v24, 0
	v_pk_fma_f16 v47, v47, v24, 0
	;; [unrolled: 1-line block ×4, first 2 shown]
	s_waitcnt lgkmcnt(0)
	v_pk_fma_f16 v51, v51, v26, v53
	v_pk_fma_f16 v47, v48, v25, v47
	;; [unrolled: 1-line block ×4, first 2 shown]
	v_cvt_f32_f16_e32 v52, v51
	v_cvt_f32_f16_sdwa v51, v51 dst_sel:DWORD dst_unused:UNUSED_PAD src0_sel:WORD_1
	v_pk_fma_f16 v57, v57, v26, v61
	v_pk_fma_f16 v47, v49, v26, v47
	;; [unrolled: 1-line block ×4, first 2 shown]
	v_add_f32_e32 v51, v51, v52
	v_pk_fma_f16 v47, v50, v27, v47
	v_pk_fma_f16 v24, v56, v27, v24
	v_cvt_f32_f16_e32 v58, v57
	v_cvt_f32_f16_sdwa v57, v57 dst_sel:DWORD dst_unused:UNUSED_PAD src0_sel:WORD_1
	v_fmac_f32_e32 v31, v51, v42
	v_cvt_f32_f16_e32 v48, v47
	v_cvt_f32_f16_sdwa v50, v47 dst_sel:DWORD dst_unused:UNUSED_PAD src0_sel:WORD_1
	v_cvt_f32_f16_sdwa v51, v24 dst_sel:DWORD dst_unused:UNUSED_PAD src0_sel:WORD_1
	v_cvt_f32_f16_e32 v49, v24
	v_add_f32_e32 v57, v57, v58
	v_fmac_f32_e32 v11, v57, v41
	v_pk_add_f32 v[12:13], v[48:49], v[50:51]
	s_nop 0
	v_pk_fma_f32 v[4:5], v[12:13], v[6:7], v[4:5]
	s_cbranch_scc1 .LBB25_14
.LBB25_12:                              ; =>This Inner Loop Header: Depth=1
	s_cmp_lg_u32 s25, s8
	s_cbranch_scc1 .LBB25_11
; %bb.13:                               ;   in Loop: Header=BB25_12 Depth=1
	s_add_i32 s5, s5, 1
	s_mul_i32 s9, s5, s16
	s_ashr_i32 s17, s9, 31
	s_lshr_b32 s17, s17, 29
	s_add_i32 s17, s9, s17
	s_ashr_i32 s17, s17, 3
	v_add_u32_e32 v8, s17, v28
	v_ashrrev_i32_e32 v9, 31, v8
	v_lshl_add_u64 v[8:9], v[8:9], 2, s[10:11]
	global_load_dword v3, v[8:9], off
	v_add_u32_e32 v6, s9, v2
	v_ashrrev_i32_e32 v7, 31, v6
	v_lshl_add_u64 v[6:7], v[6:7], 1, s[12:13]
	global_load_dwordx2 v[6:7], v[6:7], off
	s_add_i32 s8, s8, s4
	s_waitcnt vmcnt(1)
	v_lshrrev_b32_e32 v3, v39, v3
	v_lshrrev_b32_e32 v8, 4, v3
	v_and_b32_e32 v9, 15, v3
	v_lshrrev_b32_e32 v10, 12, v3
	v_lshrrev_b32_e32 v3, 8, v3
	v_and_b32_e32 v8, 15, v8
	v_and_b32_e32 v10, 15, v10
	;; [unrolled: 1-line block ×3, first 2 shown]
	v_add_u32_e32 v9, v9, v40
	v_add_u32_e32 v8, v8, v40
	;; [unrolled: 1-line block ×4, first 2 shown]
	s_waitcnt vmcnt(0)
	v_cvt_f32_f16_e32 v41, v6
	v_cvt_f32_f16_sdwa v42, v6 dst_sel:DWORD dst_unused:UNUSED_PAD src0_sel:WORD_1
	v_cvt_f32_f16_e32 v6, v7
	v_cvt_f32_f16_sdwa v7, v7 dst_sel:DWORD dst_unused:UNUSED_PAD src0_sel:WORD_1
	v_mad_u32_u24 v43, v9, s18, v36
	v_cvt_f32_ubyte0_e32 v9, v9
	v_cvt_f32_ubyte0_e32 v12, v8
	v_mad_u32_u24 v45, v8, s18, v36
	v_mad_u32_u24 v44, v3, s18, v36
	v_cvt_f32_ubyte0_e32 v8, v10
	v_cvt_f32_ubyte0_e32 v3, v3
	v_cvt_pk_f16_f32 v9, v9, v12
	v_cvt_pk_f16_f32 v3, v3, v8
	v_pk_add_f16 v9, v9, s7 op_sel_hi:[1,0] neg_lo:[1,0] neg_hi:[1,0]
	v_pk_add_f16 v12, v3, s7 op_sel_hi:[1,0] neg_lo:[1,0] neg_hi:[1,0]
	v_mad_u32_u24 v46, v10, s18, v36
	v_mul_u32_u24_sdwa v8, v9, s18 dst_sel:DWORD dst_unused:UNUSED_PAD src0_sel:WORD_0 src1_sel:DWORD
	v_mul_u32_u24_sdwa v3, v9, s18 dst_sel:DWORD dst_unused:UNUSED_PAD src0_sel:WORD_1 src1_sel:DWORD
	v_mul_u32_u24_sdwa v10, v12, s18 dst_sel:DWORD dst_unused:UNUSED_PAD src0_sel:WORD_0 src1_sel:DWORD
	v_mul_u32_u24_sdwa v9, v12, s18 dst_sel:DWORD dst_unused:UNUSED_PAD src0_sel:WORD_1 src1_sel:DWORD
	s_branch .LBB25_11
.LBB25_14:
	s_mul_i32 s24, s24, s16
	v_add_u32_e32 v0, s24, v2
	v_ashrrev_i32_e32 v1, 31, v0
	v_lshl_add_u64 v[2:3], v[0:1], 1, s[14:15]
	global_load_dword v7, v[2:3], off
	v_cvt_pk_f16_f32 v1, v37, v38
	s_mov_b64 s[0:1], 0
.LBB25_15:                              ; =>This Inner Loop Header: Depth=1
	s_waitcnt vmcnt(0)
	v_pk_add_f16 v6, v1, v7
	global_atomic_cmpswap v6, v[2:3], v[6:7], off sc0
	s_waitcnt vmcnt(0)
	v_cmp_eq_u32_e32 vcc, v7, v6
	s_or_b64 s[0:1], vcc, s[0:1]
	v_mov_b32_e32 v7, v6
	s_andn2_b64 exec, exec, s[0:1]
	s_cbranch_execnz .LBB25_15
; %bb.16:
	s_or_b64 exec, exec, s[0:1]
	global_load_dword v7, v[2:3], off offset:4
	v_cvt_pk_f16_f32 v1, v34, v35
	s_mov_b64 s[0:1], 0
.LBB25_17:                              ; =>This Inner Loop Header: Depth=1
	s_waitcnt vmcnt(0)
	v_pk_add_f16 v6, v1, v7
	global_atomic_cmpswap v6, v[2:3], v[6:7], off offset:4 sc0
	s_waitcnt vmcnt(0)
	v_cmp_eq_u32_e32 vcc, v7, v6
	s_or_b64 s[0:1], vcc, s[0:1]
	v_mov_b32_e32 v7, v6
	s_andn2_b64 exec, exec, s[0:1]
	s_cbranch_execnz .LBB25_17
; %bb.18:
	s_or_b64 exec, exec, s[0:1]
	v_add_u32_e32 v0, s16, v0
	v_ashrrev_i32_e32 v1, 31, v0
	v_lshl_add_u64 v[2:3], v[0:1], 1, s[14:15]
	global_load_dword v7, v[2:3], off
	v_cvt_pk_f16_f32 v1, v32, v33
	s_mov_b64 s[0:1], 0
.LBB25_19:                              ; =>This Inner Loop Header: Depth=1
	s_waitcnt vmcnt(0)
	v_pk_add_f16 v6, v1, v7
	global_atomic_cmpswap v6, v[2:3], v[6:7], off sc0
	s_waitcnt vmcnt(0)
	v_cmp_eq_u32_e32 vcc, v7, v6
	s_or_b64 s[0:1], vcc, s[0:1]
	v_mov_b32_e32 v7, v6
	s_andn2_b64 exec, exec, s[0:1]
	s_cbranch_execnz .LBB25_19
; %bb.20:
	s_or_b64 exec, exec, s[0:1]
	global_load_dword v7, v[2:3], off offset:4
	v_cvt_pk_f16_f32 v1, v30, v29
	s_mov_b64 s[0:1], 0
.LBB25_21:                              ; =>This Inner Loop Header: Depth=1
	s_waitcnt vmcnt(0)
	v_pk_add_f16 v6, v1, v7
	global_atomic_cmpswap v6, v[2:3], v[6:7], off offset:4 sc0
	s_waitcnt vmcnt(0)
	v_cmp_eq_u32_e32 vcc, v7, v6
	s_or_b64 s[0:1], vcc, s[0:1]
	v_mov_b32_e32 v7, v6
	s_andn2_b64 exec, exec, s[0:1]
	s_cbranch_execnz .LBB25_21
; %bb.22:
	s_or_b64 exec, exec, s[0:1]
	v_add_u32_e32 v0, s16, v0
	v_ashrrev_i32_e32 v1, 31, v0
	v_lshl_add_u64 v[0:1], v[0:1], 1, s[14:15]
	global_load_dword v3, v[0:1], off
	v_cvt_pk_f16_f32 v6, v11, v31
	s_mov_b64 s[0:1], 0
.LBB25_23:                              ; =>This Inner Loop Header: Depth=1
	s_waitcnt vmcnt(0)
	v_pk_add_f16 v2, v6, v3
	global_atomic_cmpswap v2, v[0:1], v[2:3], off sc0
	s_waitcnt vmcnt(0)
	v_cmp_eq_u32_e32 vcc, v3, v2
	s_or_b64 s[0:1], vcc, s[0:1]
	v_mov_b32_e32 v3, v2
	s_andn2_b64 exec, exec, s[0:1]
	s_cbranch_execnz .LBB25_23
; %bb.24:
	s_or_b64 exec, exec, s[0:1]
	global_load_dword v3, v[0:1], off offset:4
	v_cvt_pk_f16_f32 v4, v4, v5
	s_mov_b64 s[0:1], 0
.LBB25_25:                              ; =>This Inner Loop Header: Depth=1
	s_waitcnt vmcnt(0)
	v_pk_add_f16 v2, v4, v3
	global_atomic_cmpswap v2, v[0:1], v[2:3], off offset:4 sc0
	s_waitcnt vmcnt(0)
	v_cmp_eq_u32_e32 vcc, v3, v2
	s_or_b64 s[0:1], vcc, s[0:1]
	v_mov_b32_e32 v3, v2
	s_andn2_b64 exec, exec, s[0:1]
	s_cbranch_execnz .LBB25_25
.LBB25_26:
	s_endpgm
	.section	.rodata,"a",@progbits
	.p2align	6, 0x0
	.amdhsa_kernel _ZN4vllm4gptq33gemm_half_q_half_gptq_4bit_kernelILb1ELi3EEEvPK6__halfPKjS6_S4_PS2_iiiibPKi
		.amdhsa_group_segment_fixed_size 768
		.amdhsa_private_segment_fixed_size 0
		.amdhsa_kernarg_size 72
		.amdhsa_user_sgpr_count 2
		.amdhsa_user_sgpr_dispatch_ptr 0
		.amdhsa_user_sgpr_queue_ptr 0
		.amdhsa_user_sgpr_kernarg_segment_ptr 1
		.amdhsa_user_sgpr_dispatch_id 0
		.amdhsa_user_sgpr_kernarg_preload_length 0
		.amdhsa_user_sgpr_kernarg_preload_offset 0
		.amdhsa_user_sgpr_private_segment_size 0
		.amdhsa_uses_dynamic_stack 0
		.amdhsa_enable_private_segment 0
		.amdhsa_system_sgpr_workgroup_id_x 1
		.amdhsa_system_sgpr_workgroup_id_y 1
		.amdhsa_system_sgpr_workgroup_id_z 1
		.amdhsa_system_sgpr_workgroup_info 0
		.amdhsa_system_vgpr_workitem_id 0
		.amdhsa_next_free_vgpr 66
		.amdhsa_next_free_sgpr 27
		.amdhsa_accum_offset 68
		.amdhsa_reserve_vcc 1
		.amdhsa_float_round_mode_32 0
		.amdhsa_float_round_mode_16_64 0
		.amdhsa_float_denorm_mode_32 3
		.amdhsa_float_denorm_mode_16_64 3
		.amdhsa_dx10_clamp 1
		.amdhsa_ieee_mode 1
		.amdhsa_fp16_overflow 0
		.amdhsa_tg_split 0
		.amdhsa_exception_fp_ieee_invalid_op 0
		.amdhsa_exception_fp_denorm_src 0
		.amdhsa_exception_fp_ieee_div_zero 0
		.amdhsa_exception_fp_ieee_overflow 0
		.amdhsa_exception_fp_ieee_underflow 0
		.amdhsa_exception_fp_ieee_inexact 0
		.amdhsa_exception_int_div_zero 0
	.end_amdhsa_kernel
	.section	.text._ZN4vllm4gptq33gemm_half_q_half_gptq_4bit_kernelILb1ELi3EEEvPK6__halfPKjS6_S4_PS2_iiiibPKi,"axG",@progbits,_ZN4vllm4gptq33gemm_half_q_half_gptq_4bit_kernelILb1ELi3EEEvPK6__halfPKjS6_S4_PS2_iiiibPKi,comdat
.Lfunc_end25:
	.size	_ZN4vllm4gptq33gemm_half_q_half_gptq_4bit_kernelILb1ELi3EEEvPK6__halfPKjS6_S4_PS2_iiiibPKi, .Lfunc_end25-_ZN4vllm4gptq33gemm_half_q_half_gptq_4bit_kernelILb1ELi3EEEvPK6__halfPKjS6_S4_PS2_iiiibPKi
                                        ; -- End function
	.set _ZN4vllm4gptq33gemm_half_q_half_gptq_4bit_kernelILb1ELi3EEEvPK6__halfPKjS6_S4_PS2_iiiibPKi.num_vgpr, 66
	.set _ZN4vllm4gptq33gemm_half_q_half_gptq_4bit_kernelILb1ELi3EEEvPK6__halfPKjS6_S4_PS2_iiiibPKi.num_agpr, 0
	.set _ZN4vllm4gptq33gemm_half_q_half_gptq_4bit_kernelILb1ELi3EEEvPK6__halfPKjS6_S4_PS2_iiiibPKi.numbered_sgpr, 27
	.set _ZN4vllm4gptq33gemm_half_q_half_gptq_4bit_kernelILb1ELi3EEEvPK6__halfPKjS6_S4_PS2_iiiibPKi.num_named_barrier, 0
	.set _ZN4vllm4gptq33gemm_half_q_half_gptq_4bit_kernelILb1ELi3EEEvPK6__halfPKjS6_S4_PS2_iiiibPKi.private_seg_size, 0
	.set _ZN4vllm4gptq33gemm_half_q_half_gptq_4bit_kernelILb1ELi3EEEvPK6__halfPKjS6_S4_PS2_iiiibPKi.uses_vcc, 1
	.set _ZN4vllm4gptq33gemm_half_q_half_gptq_4bit_kernelILb1ELi3EEEvPK6__halfPKjS6_S4_PS2_iiiibPKi.uses_flat_scratch, 0
	.set _ZN4vllm4gptq33gemm_half_q_half_gptq_4bit_kernelILb1ELi3EEEvPK6__halfPKjS6_S4_PS2_iiiibPKi.has_dyn_sized_stack, 0
	.set _ZN4vllm4gptq33gemm_half_q_half_gptq_4bit_kernelILb1ELi3EEEvPK6__halfPKjS6_S4_PS2_iiiibPKi.has_recursion, 0
	.set _ZN4vllm4gptq33gemm_half_q_half_gptq_4bit_kernelILb1ELi3EEEvPK6__halfPKjS6_S4_PS2_iiiibPKi.has_indirect_call, 0
	.section	.AMDGPU.csdata,"",@progbits
; Kernel info:
; codeLenInByte = 6656
; TotalNumSgprs: 33
; NumVgprs: 66
; NumAgprs: 0
; TotalNumVgprs: 66
; ScratchSize: 0
; MemoryBound: 0
; FloatMode: 240
; IeeeMode: 1
; LDSByteSize: 768 bytes/workgroup (compile time only)
; SGPRBlocks: 4
; VGPRBlocks: 8
; NumSGPRsForWavesPerEU: 33
; NumVGPRsForWavesPerEU: 66
; AccumOffset: 68
; Occupancy: 7
; WaveLimiterHint : 0
; COMPUTE_PGM_RSRC2:SCRATCH_EN: 0
; COMPUTE_PGM_RSRC2:USER_SGPR: 2
; COMPUTE_PGM_RSRC2:TRAP_HANDLER: 0
; COMPUTE_PGM_RSRC2:TGID_X_EN: 1
; COMPUTE_PGM_RSRC2:TGID_Y_EN: 1
; COMPUTE_PGM_RSRC2:TGID_Z_EN: 1
; COMPUTE_PGM_RSRC2:TIDIG_COMP_CNT: 0
; COMPUTE_PGM_RSRC3_GFX90A:ACCUM_OFFSET: 16
; COMPUTE_PGM_RSRC3_GFX90A:TG_SPLIT: 0
	.section	.text._ZN4vllm4gptq33gemm_half_q_half_gptq_8bit_kernelILb1ELi3EEEvPK6__halfPKjS6_S4_PS2_iiiibPKi,"axG",@progbits,_ZN4vllm4gptq33gemm_half_q_half_gptq_8bit_kernelILb1ELi3EEEvPK6__halfPKjS6_S4_PS2_iiiibPKi,comdat
	.protected	_ZN4vllm4gptq33gemm_half_q_half_gptq_8bit_kernelILb1ELi3EEEvPK6__halfPKjS6_S4_PS2_iiiibPKi ; -- Begin function _ZN4vllm4gptq33gemm_half_q_half_gptq_8bit_kernelILb1ELi3EEEvPK6__halfPKjS6_S4_PS2_iiiibPKi
	.globl	_ZN4vllm4gptq33gemm_half_q_half_gptq_8bit_kernelILb1ELi3EEEvPK6__halfPKjS6_S4_PS2_iiiibPKi
	.p2align	8
	.type	_ZN4vllm4gptq33gemm_half_q_half_gptq_8bit_kernelILb1ELi3EEEvPK6__halfPKjS6_S4_PS2_iiiibPKi,@function
_ZN4vllm4gptq33gemm_half_q_half_gptq_8bit_kernelILb1ELi3EEEvPK6__halfPKjS6_S4_PS2_iiiibPKi: ; @_ZN4vllm4gptq33gemm_half_q_half_gptq_8bit_kernelILb1ELi3EEEvPK6__halfPKjS6_S4_PS2_iiiibPKi
; %bb.0:
	s_load_dwordx8 s[8:15], s[0:1], 0x8
	s_load_dwordx4 s[16:19], s[0:1], 0x2c
	s_lshl_b32 s25, s4, 7
	s_mul_i32 s24, s3, 3
	s_add_i32 s3, s25, 0x80
	v_cvt_f64_u32_e32 v[2:3], s3
	s_waitcnt lgkmcnt(0)
	v_cvt_f64_i32_e32 v[4:5], s17
	v_min_f64 v[2:3], v[2:3], v[4:5]
	v_cvt_i32_f64_e32 v1, v[2:3]
	v_add_u32_e32 v2, s25, v0
	v_readfirstlane_b32 s26, v1
	v_cmp_lt_u32_e32 vcc, v2, v1
	s_and_saveexec_b64 s[4:5], vcc
	s_cbranch_execz .LBB26_8
; %bb.1:
	s_load_dwordx2 s[22:23], s[0:1], 0x40
	s_load_dwordx2 s[6:7], s[0:1], 0x0
	v_mov_b32_e32 v3, 0
	v_mov_b64_e32 v[6:7], v[2:3]
	s_waitcnt lgkmcnt(0)
	s_cmp_lg_u64 s[22:23], 0
	s_cselect_b64 s[20:21], -1, 0
	s_cmp_eq_u64 s[22:23], 0
	v_lshl_add_u64 v[4:5], v[2:3], 2, s[22:23]
	s_cbranch_scc1 .LBB26_3
; %bb.2:
	global_load_dword v6, v[4:5], off
	s_waitcnt vmcnt(0)
	v_ashrrev_i32_e32 v7, 31, v6
.LBB26_3:
	s_mul_i32 s22, s24, s17
	s_ashr_i32 s23, s22, 31
	s_lshl_b64 s[0:1], s[22:23], 1
	s_add_u32 s0, s6, s0
	s_addc_u32 s1, s7, s1
	v_lshl_add_u64 v[6:7], v[6:7], 1, s[0:1]
	global_load_ushort v6, v[6:7], off
	v_lshlrev_b32_e32 v1, 1, v0
	v_cndmask_b32_e64 v7, 0, 1, s[20:21]
	v_cmp_ne_u32_e64 s[0:1], 1, v7
	s_andn2_b64 vcc, exec, s[20:21]
	s_waitcnt vmcnt(0)
	ds_write_b16 v1, v6
	v_mov_b64_e32 v[6:7], v[2:3]
	s_cbranch_vccnz .LBB26_5
; %bb.4:
	global_load_dword v6, v[4:5], off
	s_waitcnt vmcnt(0)
	v_ashrrev_i32_e32 v7, 31, v6
.LBB26_5:
	s_add_i32 s20, s22, s17
	s_ashr_i32 s21, s20, 31
	s_lshl_b64 s[22:23], s[20:21], 1
	s_add_u32 s22, s6, s22
	s_addc_u32 s23, s7, s23
	v_lshl_add_u64 v[6:7], v[6:7], 1, s[22:23]
	global_load_ushort v6, v[6:7], off
	s_and_b64 vcc, exec, s[0:1]
	s_waitcnt vmcnt(0)
	ds_write_b16 v1, v6 offset:256
	s_cbranch_vccnz .LBB26_7
; %bb.6:
	global_load_dword v2, v[4:5], off
	s_waitcnt vmcnt(0)
	v_ashrrev_i32_e32 v3, 31, v2
.LBB26_7:
	s_add_i32 s0, s20, s17
	s_ashr_i32 s1, s0, 31
	s_lshl_b64 s[0:1], s[0:1], 1
	s_add_u32 s0, s6, s0
	s_addc_u32 s1, s7, s1
	v_lshl_add_u64 v[2:3], v[2:3], 1, s[0:1]
	global_load_ushort v2, v[2:3], off
	s_waitcnt vmcnt(0)
	ds_write_b16 v1, v2 offset:512
.LBB26_8:
	s_or_b64 exec, exec, s[4:5]
	v_lshlrev_b32_e32 v0, 2, v0
	v_lshl_add_u32 v24, s2, 9, v0
	v_cmp_gt_i32_e32 vcc, s16, v24
	s_and_saveexec_b64 s[0:1], vcc
	s_cbranch_execz .LBB26_26
; %bb.9:
	s_abs_i32 s0, s18
	v_cvt_f32_u32_e32 v0, s0
	s_mov_b32 s4, 0
	v_mov_b32_e32 v15, 0
	v_mov_b32_e32 v14, 0
	v_rcp_iflag_f32_e32 v0, v0
	v_mov_b32_e32 v13, 0
	v_mov_b32_e32 v12, 0
	s_cmp_ge_i32 s25, s26
	v_mul_f32_e32 v0, 0x4f7ffffe, v0
	v_cvt_u32_f32_e32 v0, v0
	v_mov_b32_e32 v23, 0
	v_mov_b32_e32 v22, 0
	s_waitcnt lgkmcnt(0)
	v_readfirstlane_b32 s1, v0
	s_barrier
	s_cbranch_scc1 .LBB26_14
; %bb.10:
	s_sub_i32 s6, 0, s0
	s_mul_i32 s6, s6, s1
	s_mul_hi_u32 s6, s1, s6
	s_abs_i32 s5, s17
	s_add_i32 s1, s1, s6
	s_ashr_i32 s2, s17, 31
	s_ashr_i32 s3, s18, 31
	s_mul_hi_u32 s1, s5, s1
	s_xor_b32 s2, s2, s3
	s_mul_i32 s3, s1, s0
	s_sub_i32 s3, s5, s3
	s_add_i32 s5, s1, 1
	s_sub_i32 s6, s3, s0
	s_cmp_ge_u32 s3, s0
	s_cselect_b32 s1, s5, s1
	s_cselect_b32 s3, s6, s3
	s_add_i32 s5, s1, 1
	s_cmp_ge_u32 s3, s0
	s_cselect_b32 s0, s5, s1
	s_xor_b32 s0, s0, s2
	s_sub_i32 s5, s0, s2
	v_cvt_f32_u32_e32 v0, s5
	s_bitcmp1_b32 s19, 0
	s_cselect_b64 s[0:1], -1, 0
	s_sub_i32 s2, 0, s5
	v_rcp_iflag_f32_e32 v0, v0
	s_xor_b64 s[0:1], s[0:1], -1
	v_ashrrev_i32_e32 v32, 2, v24
	v_cndmask_b32_e64 v33, 0, 1, s[0:1]
	v_mul_f32_e32 v0, 0x4f7ffffe, v0
	v_cvt_u32_f32_e32 v0, v0
	v_ashrrev_i32_e32 v25, 31, v24
	v_mov_b32_e32 v22, 0
	v_mov_b32_e32 v23, 0
	v_readfirstlane_b32 s3, v0
	s_mul_i32 s2, s2, s3
	s_mul_hi_u32 s2, s3, s2
	s_add_i32 s3, s3, s2
	s_mul_hi_u32 s2, s25, s3
	s_mul_i32 s3, s2, s5
	s_sub_i32 s3, s25, s3
	s_add_i32 s6, s2, 1
	s_sub_i32 s7, s3, s5
	s_cmp_ge_u32 s3, s5
	s_cselect_b32 s2, s6, s2
	s_cselect_b32 s3, s7, s3
	s_add_i32 s6, s2, 1
	s_cmp_ge_u32 s3, s5
	s_cselect_b32 s6, s6, s2
	s_mul_i32 s2, s6, s16
	s_ashr_i32 s3, s2, 31
	s_lshr_b32 s3, s3, 30
	s_add_i32 s3, s2, s3
	s_ashr_i32 s3, s3, 2
	v_add_u32_e32 v0, s3, v32
	v_ashrrev_i32_e32 v1, 31, v0
	v_lshl_add_u64 v[0:1], v[0:1], 2, s[10:11]
	global_load_dword v2, v[0:1], off
	v_add_u32_e32 v0, s2, v24
	v_ashrrev_i32_e32 v1, 31, v0
	v_lshl_add_u64 v[0:1], v[0:1], 1, s[12:13]
	global_load_dwordx2 v[26:27], v[0:1], off
	s_lshr_b32 s0, s25, 2
	s_mul_i32 s0, s16, s0
	s_ashr_i32 s1, s0, 31
	s_lshl_b64 s[0:1], s[0:1], 2
	s_add_u32 s0, s8, s0
	s_addc_u32 s1, s9, s1
	s_ashr_i32 s17, s16, 31
	v_mov_b32_e32 v12, 0
	v_mov_b32_e32 v13, 0
	;; [unrolled: 1-line block ×3, first 2 shown]
	s_add_i32 s7, s5, s25
	v_lshl_add_u64 v[28:29], v[24:25], 2, s[0:1]
	s_lshl_b64 s[0:1], s[16:17], 5
	s_lshl_b64 s[2:3], s[16:17], 2
	v_mov_b32_e32 v15, 0
	s_waitcnt vmcnt(1)
	v_and_b32_e32 v25, 0xff, v2
	v_bfe_u32 v34, v2, 8, 8
	v_bfe_u32 v35, v2, 16, 8
	v_lshrrev_b32_e32 v36, 24, v2
	s_branch .LBB26_12
.LBB26_11:                              ;   in Loop: Header=BB26_12 Depth=1
	v_lshl_add_u64 v[20:21], v[28:29], 0, s[2:3]
	global_load_dwordx4 v[4:7], v[28:29], off
	global_load_dwordx4 v[0:3], v[20:21], off
	v_add_u32_e32 v40, v25, v33
	v_add_u32_e32 v39, v34, v33
	;; [unrolled: 1-line block ×4, first 2 shown]
	s_add_i32 s25, s25, 32
	v_lshl_add_u64 v[28:29], v[28:29], 0, s[0:1]
	s_waitcnt vmcnt(1)
	v_sub_u32_sdwa v41, v7, v37 dst_sel:DWORD dst_unused:UNUSED_PAD src0_sel:BYTE_1 src1_sel:DWORD
	s_waitcnt vmcnt(0)
	v_sub_u32_sdwa v43, v0, v40 dst_sel:DWORD dst_unused:UNUSED_PAD src0_sel:BYTE_0 src1_sel:DWORD
	v_sub_u32_sdwa v46, v1, v39 dst_sel:DWORD dst_unused:UNUSED_PAD src0_sel:BYTE_0 src1_sel:DWORD
	v_sub_u32_sdwa v47, v1, v39 dst_sel:DWORD dst_unused:UNUSED_PAD src0_sel:BYTE_1 src1_sel:DWORD
	v_sub_u32_sdwa v48, v1, v39 dst_sel:DWORD dst_unused:UNUSED_PAD src0_sel:BYTE_2 src1_sel:DWORD
	v_sub_u32_sdwa v1, v1, v39 dst_sel:DWORD dst_unused:UNUSED_PAD src0_sel:BYTE_3 src1_sel:DWORD
	v_sub_u32_sdwa v44, v0, v40 dst_sel:DWORD dst_unused:UNUSED_PAD src0_sel:BYTE_1 src1_sel:DWORD
	v_sub_u32_sdwa v45, v0, v40 dst_sel:DWORD dst_unused:UNUSED_PAD src0_sel:BYTE_2 src1_sel:DWORD
	v_sub_u32_sdwa v0, v0, v40 dst_sel:DWORD dst_unused:UNUSED_PAD src0_sel:BYTE_3 src1_sel:DWORD
	v_cvt_f32_i32_e32 v54, v43
	v_cvt_f32_i32_e32 v57, v46
	;; [unrolled: 1-line block ×4, first 2 shown]
	v_sub_u32_sdwa v8, v4, v40 dst_sel:DWORD dst_unused:UNUSED_PAD src0_sel:BYTE_0 src1_sel:DWORD
	v_sub_u32_sdwa v9, v4, v40 dst_sel:DWORD dst_unused:UNUSED_PAD src0_sel:BYTE_1 src1_sel:DWORD
	v_sub_u32_sdwa v18, v6, v38 dst_sel:DWORD dst_unused:UNUSED_PAD src0_sel:BYTE_0 src1_sel:DWORD
	v_sub_u32_sdwa v19, v6, v38 dst_sel:DWORD dst_unused:UNUSED_PAD src0_sel:BYTE_1 src1_sel:DWORD
	v_sub_u32_sdwa v30, v6, v38 dst_sel:DWORD dst_unused:UNUSED_PAD src0_sel:BYTE_2 src1_sel:DWORD
	v_sub_u32_sdwa v6, v6, v38 dst_sel:DWORD dst_unused:UNUSED_PAD src0_sel:BYTE_3 src1_sel:DWORD
	v_sub_u32_sdwa v31, v7, v37 dst_sel:DWORD dst_unused:UNUSED_PAD src0_sel:BYTE_0 src1_sel:DWORD
	v_sub_u32_sdwa v42, v7, v37 dst_sel:DWORD dst_unused:UNUSED_PAD src0_sel:BYTE_2 src1_sel:DWORD
	v_sub_u32_sdwa v7, v7, v37 dst_sel:DWORD dst_unused:UNUSED_PAD src0_sel:BYTE_3 src1_sel:DWORD
	v_sub_u32_sdwa v49, v2, v38 dst_sel:DWORD dst_unused:UNUSED_PAD src0_sel:BYTE_0 src1_sel:DWORD
	v_sub_u32_sdwa v50, v2, v38 dst_sel:DWORD dst_unused:UNUSED_PAD src0_sel:BYTE_1 src1_sel:DWORD
	v_sub_u32_sdwa v51, v2, v38 dst_sel:DWORD dst_unused:UNUSED_PAD src0_sel:BYTE_2 src1_sel:DWORD
	v_sub_u32_sdwa v2, v2, v38 dst_sel:DWORD dst_unused:UNUSED_PAD src0_sel:BYTE_3 src1_sel:DWORD
	v_cvt_f32_i32_e32 v41, v41
	v_cvt_f16_f32_e32 v62, v54
	v_cvt_f16_f32_e32 v54, v57
	;; [unrolled: 1-line block ×3, first 2 shown]
	v_sub_u32_sdwa v1, v3, v37 dst_sel:DWORD dst_unused:UNUSED_PAD src0_sel:BYTE_0 src1_sel:DWORD
	v_cvt_f32_i32_e32 v8, v8
	v_cvt_f32_i32_e32 v9, v9
	;; [unrolled: 1-line block ×6, first 2 shown]
	v_cvt_f16_f32_e32 v61, v0
	v_cvt_f32_i32_e32 v0, v7
	v_cvt_f32_i32_e32 v1, v1
	v_sub_u32_sdwa v10, v4, v40 dst_sel:DWORD dst_unused:UNUSED_PAD src0_sel:BYTE_2 src1_sel:DWORD
	v_sub_u32_sdwa v4, v4, v40 dst_sel:DWORD dst_unused:UNUSED_PAD src0_sel:BYTE_3 src1_sel:DWORD
	v_cvt_f32_i32_e32 v10, v10
	v_cvt_f16_f32_e32 v69, v41
	v_mov_b32_e32 v41, s4
	v_cvt_f32_i32_e32 v4, v4
	v_cvt_f32_i32_e32 v55, v44
	v_cvt_f16_f32_e32 v58, v8
	v_cvt_f16_f32_e32 v59, v9
	;; [unrolled: 1-line block ×8, first 2 shown]
	v_sub_u32_sdwa v0, v3, v37 dst_sel:DWORD dst_unused:UNUSED_PAD src0_sel:BYTE_1 src1_sel:DWORD
	v_sub_u32_sdwa v1, v3, v37 dst_sel:DWORD dst_unused:UNUSED_PAD src0_sel:BYTE_2 src1_sel:DWORD
	v_sub_u32_sdwa v2, v3, v37 dst_sel:DWORD dst_unused:UNUSED_PAD src0_sel:BYTE_3 src1_sel:DWORD
	ds_read_b128 v[6:9], v41
	v_cvt_f32_i32_e32 v0, v0
	v_cvt_f32_i32_e32 v1, v1
	;; [unrolled: 1-line block ×4, first 2 shown]
	v_cvt_f16_f32_e32 v60, v10
	v_cvt_f16_f32_e32 v53, v4
	v_sub_u32_sdwa v11, v5, v39 dst_sel:DWORD dst_unused:UNUSED_PAD src0_sel:BYTE_0 src1_sel:DWORD
	v_cvt_f16_f32_e32 v73, v0
	v_cvt_f16_f32_e32 v74, v1
	;; [unrolled: 1-line block ×3, first 2 shown]
	ds_read_b128 v[0:3], v41 offset:16
	s_waitcnt lgkmcnt(1)
	v_fma_mix_f32 v4, v58, v6, 0 op_sel_hi:[1,1,0]
	v_sub_u32_sdwa v16, v5, v39 dst_sel:DWORD dst_unused:UNUSED_PAD src0_sel:BYTE_1 src1_sel:DWORD
	v_cvt_f32_i32_e32 v11, v11
	v_cvt_f16_f32_e32 v63, v55
	v_fma_mix_f32 v4, v59, v6, v4 op_sel:[0,1,0] op_sel_hi:[1,1,0]
	v_sub_u32_sdwa v17, v5, v39 dst_sel:DWORD dst_unused:UNUSED_PAD src0_sel:BYTE_2 src1_sel:DWORD
	v_cvt_f32_i32_e32 v16, v16
	v_cvt_f16_f32_e32 v64, v56
	v_fma_mix_f32 v4, v60, v7, v4 op_sel_hi:[1,1,0]
	v_sub_u32_sdwa v5, v5, v39 dst_sel:DWORD dst_unused:UNUSED_PAD src0_sel:BYTE_3 src1_sel:DWORD
	v_cvt_f32_i32_e32 v17, v17
	v_fma_mix_f32 v4, v53, v7, v4 op_sel:[0,1,0] op_sel_hi:[1,1,0]
	v_cvt_f32_i32_e32 v5, v5
	v_fma_mix_f32 v4, v62, v8, v4 op_sel_hi:[1,1,0]
	v_cvt_f32_i32_e32 v65, v42
	v_cvt_f16_f32_e32 v45, v11
	v_fma_mix_f32 v4, v63, v8, v4 op_sel:[0,1,0] op_sel_hi:[1,1,0]
	v_cvt_f32_i32_e32 v66, v47
	v_cvt_f16_f32_e32 v46, v16
	v_fma_mix_f32 v4, v64, v9, v4 op_sel_hi:[1,1,0]
	v_cvt_f32_i32_e32 v67, v48
	v_cvt_f16_f32_e32 v47, v17
	v_fma_mix_f32 v4, v61, v9, v4 op_sel:[0,1,0] op_sel_hi:[1,1,0]
	v_cvt_f16_f32_e32 v48, v5
	v_fma_mixlo_f16 v4, v4, v26, 0 op_sel_hi:[0,1,0]
	v_cvt_f16_f32_e32 v70, v65
	v_add_f16_e32 v65, v15, v4
	v_fma_mix_f32 v4, v45, v6, 0 op_sel_hi:[1,1,0]
	v_cvt_f32_i32_e32 v18, v18
	v_cvt_f16_f32_e32 v55, v66
	v_fma_mix_f32 v4, v46, v6, v4 op_sel:[0,1,0] op_sel_hi:[1,1,0]
	v_cvt_f32_i32_e32 v19, v19
	v_cvt_f16_f32_e32 v56, v67
	v_fma_mix_f32 v4, v47, v7, v4 op_sel_hi:[1,1,0]
	v_cvt_f32_i32_e32 v49, v49
	v_fma_mix_f32 v4, v48, v7, v4 op_sel:[0,1,0] op_sel_hi:[1,1,0]
	v_cvt_f16_f32_e32 v31, v18
	v_fma_mix_f32 v4, v54, v8, v4 op_sel_hi:[1,1,0]
	v_cvt_f32_i32_e32 v50, v50
	v_fma_mix_f32 v4, v55, v8, v4 op_sel:[0,1,0] op_sel_hi:[1,1,0]
	;; [unrolled: 4-line block ×3, first 2 shown]
	v_cvt_f16_f32_e32 v49, v49
	v_fma_mixlo_f16 v4, v4, v26, 0 op_sel:[0,1,0] op_sel_hi:[0,1,0]
	v_add_f16_sdwa v66, v15, v4 dst_sel:DWORD dst_unused:UNUSED_PAD src0_sel:WORD_1 src1_sel:DWORD
	v_fma_mix_f32 v4, v31, v6, 0 op_sel_hi:[1,1,0]
	v_cvt_f16_f32_e32 v50, v50
	v_fma_mix_f32 v4, v42, v6, v4 op_sel:[0,1,0] op_sel_hi:[1,1,0]
	v_cvt_f16_f32_e32 v51, v51
	v_fma_mix_f32 v4, v43, v7, v4 op_sel_hi:[1,1,0]
	ds_read_b128 v[16:19], v41 offset:512
	v_fma_mix_f32 v4, v44, v7, v4 op_sel:[0,1,0] op_sel_hi:[1,1,0]
	s_add_i32 s4, s4, 64
	v_fma_mix_f32 v4, v49, v8, v4 op_sel_hi:[1,1,0]
	s_cmp_ge_i32 s25, s26
	v_fma_mix_f32 v4, v50, v8, v4 op_sel:[0,1,0] op_sel_hi:[1,1,0]
	s_nop 0
	v_fma_mix_f32 v4, v51, v9, v4 op_sel_hi:[1,1,0]
	s_nop 0
	v_fma_mix_f32 v4, v52, v9, v4 op_sel:[0,1,0] op_sel_hi:[1,1,0]
	s_nop 0
	v_fma_mixlo_f16 v4, v4, v27, 0 op_sel_hi:[0,1,0]
	v_add_f16_e32 v67, v14, v4
	v_fma_mix_f32 v4, v30, v6, 0 op_sel_hi:[1,1,0]
	s_nop 0
	v_fma_mix_f32 v4, v69, v6, v4 op_sel:[0,1,0] op_sel_hi:[1,1,0]
	s_nop 0
	v_fma_mix_f32 v4, v70, v7, v4 op_sel_hi:[1,1,0]
	s_nop 0
	v_fma_mix_f32 v4, v71, v7, v4 op_sel:[0,1,0] op_sel_hi:[1,1,0]
	s_nop 0
	;; [unrolled: 4-line block ×3, first 2 shown]
	v_fma_mix_f32 v8, v74, v9, v4 op_sel_hi:[1,1,0]
	ds_read_b128 v[4:7], v41 offset:256
	v_fma_mix_f32 v8, v75, v9, v8 op_sel:[0,1,0] op_sel_hi:[1,1,0]
	s_nop 0
	v_fma_mixlo_f16 v8, v8, v27, 0 op_sel:[0,1,0] op_sel_hi:[0,1,0]
	v_add_f16_sdwa v68, v14, v8 dst_sel:DWORD dst_unused:UNUSED_PAD src0_sel:WORD_1 src1_sel:DWORD
	ds_read_b128 v[8:11], v41 offset:272
	s_waitcnt lgkmcnt(1)
	v_fma_mix_f32 v14, v58, v4, 0 op_sel_hi:[1,1,0]
	s_nop 0
	v_fma_mix_f32 v14, v59, v4, v14 op_sel:[0,1,0] op_sel_hi:[1,1,0]
	s_nop 0
	v_fma_mix_f32 v14, v60, v5, v14 op_sel_hi:[1,1,0]
	s_nop 0
	v_fma_mix_f32 v14, v53, v5, v14 op_sel:[0,1,0] op_sel_hi:[1,1,0]
	s_nop 0
	v_fma_mix_f32 v14, v62, v6, v14 op_sel_hi:[1,1,0]
	s_nop 0
	v_fma_mix_f32 v14, v63, v6, v14 op_sel:[0,1,0] op_sel_hi:[1,1,0]
	s_nop 0
	v_fma_mix_f32 v14, v64, v7, v14 op_sel_hi:[1,1,0]
	s_nop 0
	v_fma_mix_f32 v14, v61, v7, v14 op_sel:[0,1,0] op_sel_hi:[1,1,0]
	s_nop 0
	v_fma_mixlo_f16 v14, v14, v26, 0 op_sel_hi:[0,1,0]
	v_add_f16_e32 v76, v13, v14
	v_fma_mix_f32 v14, v45, v4, 0 op_sel_hi:[1,1,0]
	s_nop 0
	v_fma_mix_f32 v14, v46, v4, v14 op_sel:[0,1,0] op_sel_hi:[1,1,0]
	s_nop 0
	v_fma_mix_f32 v14, v47, v5, v14 op_sel_hi:[1,1,0]
	s_nop 0
	v_fma_mix_f32 v14, v48, v5, v14 op_sel:[0,1,0] op_sel_hi:[1,1,0]
	s_nop 0
	v_fma_mix_f32 v14, v54, v6, v14 op_sel_hi:[1,1,0]
	s_nop 0
	v_fma_mix_f32 v14, v55, v6, v14 op_sel:[0,1,0] op_sel_hi:[1,1,0]
	s_nop 0
	v_fma_mix_f32 v14, v56, v7, v14 op_sel_hi:[1,1,0]
	s_nop 0
	v_fma_mix_f32 v14, v57, v7, v14 op_sel:[0,1,0] op_sel_hi:[1,1,0]
	s_nop 0
	v_fma_mixlo_f16 v14, v14, v26, 0 op_sel:[0,1,0] op_sel_hi:[0,1,0]
	v_add_f16_sdwa v77, v13, v14 dst_sel:DWORD dst_unused:UNUSED_PAD src0_sel:WORD_1 src1_sel:DWORD
	v_fma_mix_f32 v13, v31, v4, 0 op_sel_hi:[1,1,0]
	s_nop 0
	v_fma_mix_f32 v13, v42, v4, v13 op_sel:[0,1,0] op_sel_hi:[1,1,0]
	s_nop 0
	v_fma_mix_f32 v13, v43, v5, v13 op_sel_hi:[1,1,0]
	s_nop 0
	v_fma_mix_f32 v13, v44, v5, v13 op_sel:[0,1,0] op_sel_hi:[1,1,0]
	s_nop 0
	v_fma_mix_f32 v13, v49, v6, v13 op_sel_hi:[1,1,0]
	s_nop 0
	v_fma_mix_f32 v13, v50, v6, v13 op_sel:[0,1,0] op_sel_hi:[1,1,0]
	s_nop 0
	v_fma_mix_f32 v13, v51, v7, v13 op_sel_hi:[1,1,0]
	s_nop 0
	v_fma_mix_f32 v13, v52, v7, v13 op_sel:[0,1,0] op_sel_hi:[1,1,0]
	s_nop 0
	v_fma_mixlo_f16 v13, v13, v27, 0 op_sel_hi:[0,1,0]
	v_add_f16_e32 v79, v12, v13
	v_fma_mix_f32 v13, v30, v4, 0 op_sel_hi:[1,1,0]
	s_nop 0
	v_fma_mix_f32 v4, v69, v4, v13 op_sel:[0,1,0] op_sel_hi:[1,1,0]
	s_nop 0
	v_fma_mix_f32 v4, v70, v5, v4 op_sel_hi:[1,1,0]
	s_nop 0
	v_fma_mix_f32 v4, v71, v5, v4 op_sel:[0,1,0] op_sel_hi:[1,1,0]
	s_nop 0
	;; [unrolled: 4-line block ×4, first 2 shown]
	v_fma_mixlo_f16 v4, v4, v27, 0 op_sel:[0,1,0] op_sel_hi:[0,1,0]
	v_add_f16_sdwa v6, v12, v4 dst_sel:DWORD dst_unused:UNUSED_PAD src0_sel:WORD_1 src1_sel:DWORD
	ds_read_b128 v[12:15], v41 offset:528
	v_fma_mix_f32 v4, v58, v16, 0 op_sel_hi:[1,1,0]
	s_nop 0
	v_fma_mix_f32 v4, v59, v16, v4 op_sel:[0,1,0] op_sel_hi:[1,1,0]
	s_nop 0
	v_fma_mix_f32 v7, v60, v17, v4 op_sel_hi:[1,1,0]
	v_lshl_add_u64 v[4:5], v[20:21], 0, s[2:3]
	global_load_dwordx4 v[82:85], v[4:5], off
	v_lshl_add_u64 v[4:5], v[4:5], 0, s[2:3]
	global_load_dwordx4 v[86:89], v[4:5], off
	v_fma_mix_f32 v7, v53, v17, v7 op_sel:[0,1,0] op_sel_hi:[1,1,0]
	v_lshl_add_u64 v[4:5], v[4:5], 0, s[2:3]
	v_fma_mix_f32 v7, v62, v18, v7 op_sel_hi:[1,1,0]
	s_nop 0
	v_fma_mix_f32 v7, v63, v18, v7 op_sel:[0,1,0] op_sel_hi:[1,1,0]
	s_nop 0
	v_fma_mix_f32 v7, v64, v19, v7 op_sel_hi:[1,1,0]
	s_nop 0
	v_fma_mix_f32 v7, v61, v19, v7 op_sel:[0,1,0] op_sel_hi:[1,1,0]
	s_nop 0
	v_fma_mixlo_f16 v7, v7, v26, 0 op_sel_hi:[0,1,0]
	v_add_f16_e32 v58, v23, v7
	v_fma_mix_f32 v7, v45, v16, 0 op_sel_hi:[1,1,0]
	s_nop 0
	v_fma_mix_f32 v7, v46, v16, v7 op_sel:[0,1,0] op_sel_hi:[1,1,0]
	s_nop 0
	v_fma_mix_f32 v7, v47, v17, v7 op_sel_hi:[1,1,0]
	s_nop 0
	v_fma_mix_f32 v7, v48, v17, v7 op_sel:[0,1,0] op_sel_hi:[1,1,0]
	s_nop 0
	;; [unrolled: 4-line block ×4, first 2 shown]
	v_fma_mixlo_f16 v7, v7, v26, 0 op_sel:[0,1,0] op_sel_hi:[0,1,0]
	v_add_f16_sdwa v45, v23, v7 dst_sel:DWORD dst_unused:UNUSED_PAD src0_sel:WORD_1 src1_sel:DWORD
	v_fma_mix_f32 v7, v31, v16, 0 op_sel_hi:[1,1,0]
	s_nop 0
	v_fma_mix_f32 v7, v42, v16, v7 op_sel:[0,1,0] op_sel_hi:[1,1,0]
	s_nop 0
	v_fma_mix_f32 v7, v43, v17, v7 op_sel_hi:[1,1,0]
	s_nop 0
	v_fma_mix_f32 v7, v44, v17, v7 op_sel:[0,1,0] op_sel_hi:[1,1,0]
	s_nop 0
	v_fma_mix_f32 v7, v49, v18, v7 op_sel_hi:[1,1,0]
	s_nop 0
	v_fma_mix_f32 v7, v50, v18, v7 op_sel:[0,1,0] op_sel_hi:[1,1,0]
	s_nop 0
	v_fma_mix_f32 v7, v51, v19, v7 op_sel_hi:[1,1,0]
	s_nop 0
	v_fma_mix_f32 v7, v52, v19, v7 op_sel:[0,1,0] op_sel_hi:[1,1,0]
	s_nop 0
	v_fma_mixlo_f16 v7, v7, v27, 0 op_sel_hi:[0,1,0]
	v_add_f16_e32 v44, v22, v7
	v_fma_mix_f32 v7, v30, v16, 0 op_sel_hi:[1,1,0]
	v_lshl_add_u64 v[30:31], v[4:5], 0, s[2:3]
	v_fma_mix_f32 v7, v69, v16, v7 op_sel:[0,1,0] op_sel_hi:[1,1,0]
	s_waitcnt vmcnt(1)
	v_sub_u32_sdwa v16, v82, v40 dst_sel:DWORD dst_unused:UNUSED_PAD src0_sel:BYTE_1 src1_sel:DWORD
	v_cvt_f32_i32_e32 v16, v16
	v_fma_mix_f32 v7, v70, v17, v7 op_sel_hi:[1,1,0]
	v_cvt_f16_f32_e32 v42, v16
	s_waitcnt vmcnt(0)
	v_sub_u32_sdwa v16, v86, v40 dst_sel:DWORD dst_unused:UNUSED_PAD src0_sel:BYTE_0 src1_sel:DWORD
	v_cvt_f32_i32_e32 v16, v16
	v_fma_mix_f32 v7, v71, v17, v7 op_sel:[0,1,0] op_sel_hi:[1,1,0]
	v_sub_u32_sdwa v17, v82, v40 dst_sel:DWORD dst_unused:UNUSED_PAD src0_sel:BYTE_2 src1_sel:DWORD
	v_fma_mix_f32 v7, v72, v18, v7 op_sel_hi:[1,1,0]
	v_cvt_f16_f32_e32 v51, v16
	v_sub_u32_sdwa v16, v83, v39 dst_sel:DWORD dst_unused:UNUSED_PAD src0_sel:BYTE_0 src1_sel:DWORD
	v_cvt_f32_i32_e32 v16, v16
	v_fma_mix_f32 v7, v73, v18, v7 op_sel:[0,1,0] op_sel_hi:[1,1,0]
	v_sub_u32_sdwa v18, v82, v40 dst_sel:DWORD dst_unused:UNUSED_PAD src0_sel:BYTE_3 src1_sel:DWORD
	v_cvt_f32_i32_e32 v17, v17
	v_cvt_f16_f32_e32 v54, v16
	v_sub_u32_sdwa v16, v87, v39 dst_sel:DWORD dst_unused:UNUSED_PAD src0_sel:BYTE_0 src1_sel:DWORD
	v_cvt_f32_i32_e32 v18, v18
	v_cvt_f32_i32_e32 v16, v16
	v_fma_mix_f32 v7, v74, v19, v7 op_sel_hi:[1,1,0]
	v_cvt_f16_f32_e32 v43, v17
	v_fma_mix_f32 v7, v75, v19, v7 op_sel:[0,1,0] op_sel_hi:[1,1,0]
	v_cvt_f16_f32_e32 v47, v18
	v_sub_u32_sdwa v17, v86, v40 dst_sel:DWORD dst_unused:UNUSED_PAD src0_sel:BYTE_1 src1_sel:DWORD
	v_sub_u32_sdwa v18, v86, v40 dst_sel:DWORD dst_unused:UNUSED_PAD src0_sel:BYTE_2 src1_sel:DWORD
	v_sub_u32_sdwa v19, v86, v40 dst_sel:DWORD dst_unused:UNUSED_PAD src0_sel:BYTE_3 src1_sel:DWORD
	v_cvt_f16_f32_e32 v60, v16
	v_sub_u32_sdwa v16, v84, v38 dst_sel:DWORD dst_unused:UNUSED_PAD src0_sel:BYTE_0 src1_sel:DWORD
	v_cvt_f32_i32_e32 v17, v17
	v_cvt_f32_i32_e32 v18, v18
	;; [unrolled: 1-line block ×4, first 2 shown]
	v_cvt_f16_f32_e32 v48, v17
	v_cvt_f16_f32_e32 v49, v18
	;; [unrolled: 1-line block ×3, first 2 shown]
	v_sub_u32_sdwa v17, v83, v39 dst_sel:DWORD dst_unused:UNUSED_PAD src0_sel:BYTE_1 src1_sel:DWORD
	v_sub_u32_sdwa v18, v83, v39 dst_sel:DWORD dst_unused:UNUSED_PAD src0_sel:BYTE_2 src1_sel:DWORD
	v_sub_u32_sdwa v19, v83, v39 dst_sel:DWORD dst_unused:UNUSED_PAD src0_sel:BYTE_3 src1_sel:DWORD
	v_cvt_f16_f32_e32 v69, v16
	v_sub_u32_sdwa v16, v88, v38 dst_sel:DWORD dst_unused:UNUSED_PAD src0_sel:BYTE_0 src1_sel:DWORD
	v_cvt_f32_i32_e32 v17, v17
	v_cvt_f32_i32_e32 v18, v18
	v_cvt_f32_i32_e32 v19, v19
	v_cvt_f32_i32_e32 v16, v16
	v_fma_mixlo_f16 v7, v7, v27, 0 op_sel:[0,1,0] op_sel_hi:[0,1,0]
	v_cvt_f16_f32_e32 v55, v17
	v_cvt_f16_f32_e32 v56, v18
	;; [unrolled: 1-line block ×3, first 2 shown]
	v_sub_u32_sdwa v17, v87, v39 dst_sel:DWORD dst_unused:UNUSED_PAD src0_sel:BYTE_1 src1_sel:DWORD
	v_sub_u32_sdwa v18, v87, v39 dst_sel:DWORD dst_unused:UNUSED_PAD src0_sel:BYTE_2 src1_sel:DWORD
	v_sub_u32_sdwa v19, v87, v39 dst_sel:DWORD dst_unused:UNUSED_PAD src0_sel:BYTE_3 src1_sel:DWORD
	v_cvt_f16_f32_e32 v80, v16
	v_sub_u32_sdwa v16, v85, v37 dst_sel:DWORD dst_unused:UNUSED_PAD src0_sel:BYTE_0 src1_sel:DWORD
	v_add_f16_sdwa v46, v22, v7 dst_sel:DWORD dst_unused:UNUSED_PAD src0_sel:WORD_1 src1_sel:DWORD
	v_sub_u32_sdwa v7, v82, v40 dst_sel:DWORD dst_unused:UNUSED_PAD src0_sel:BYTE_0 src1_sel:DWORD
	v_cvt_f32_i32_e32 v17, v17
	v_cvt_f32_i32_e32 v18, v18
	;; [unrolled: 1-line block ×5, first 2 shown]
	v_cvt_f16_f32_e32 v62, v17
	v_cvt_f16_f32_e32 v63, v18
	;; [unrolled: 1-line block ×3, first 2 shown]
	v_sub_u32_sdwa v17, v84, v38 dst_sel:DWORD dst_unused:UNUSED_PAD src0_sel:BYTE_1 src1_sel:DWORD
	v_sub_u32_sdwa v18, v84, v38 dst_sel:DWORD dst_unused:UNUSED_PAD src0_sel:BYTE_2 src1_sel:DWORD
	v_sub_u32_sdwa v19, v84, v38 dst_sel:DWORD dst_unused:UNUSED_PAD src0_sel:BYTE_3 src1_sel:DWORD
	v_cvt_f16_f32_e32 v84, v16
	v_sub_u32_sdwa v16, v89, v37 dst_sel:DWORD dst_unused:UNUSED_PAD src0_sel:BYTE_0 src1_sel:DWORD
	v_cvt_f16_f32_e32 v7, v7
	v_cvt_f32_i32_e32 v17, v17
	v_cvt_f32_i32_e32 v18, v18
	v_cvt_f32_i32_e32 v19, v19
	v_cvt_f32_i32_e32 v16, v16
	v_cvt_f16_f32_e32 v70, v17
	v_cvt_f16_f32_e32 v74, v18
	;; [unrolled: 1-line block ×3, first 2 shown]
	v_sub_u32_sdwa v17, v88, v38 dst_sel:DWORD dst_unused:UNUSED_PAD src0_sel:BYTE_1 src1_sel:DWORD
	v_sub_u32_sdwa v18, v88, v38 dst_sel:DWORD dst_unused:UNUSED_PAD src0_sel:BYTE_2 src1_sel:DWORD
	v_sub_u32_sdwa v19, v88, v38 dst_sel:DWORD dst_unused:UNUSED_PAD src0_sel:BYTE_3 src1_sel:DWORD
	v_cvt_f16_f32_e32 v88, v16
	v_fma_mix_f32 v16, v7, v0, 0 op_sel_hi:[1,1,0]
	v_cvt_f32_i32_e32 v17, v17
	v_fma_mix_f32 v16, v42, v0, v16 op_sel:[0,1,0] op_sel_hi:[1,1,0]
	v_cvt_f32_i32_e32 v18, v18
	v_fma_mix_f32 v16, v43, v1, v16 op_sel_hi:[1,1,0]
	v_cvt_f32_i32_e32 v19, v19
	v_fma_mix_f32 v16, v47, v1, v16 op_sel:[0,1,0] op_sel_hi:[1,1,0]
	v_cvt_f16_f32_e32 v81, v17
	v_fma_mix_f32 v16, v51, v2, v16 op_sel_hi:[1,1,0]
	v_cvt_f16_f32_e32 v82, v18
	v_fma_mix_f32 v16, v48, v2, v16 op_sel:[0,1,0] op_sel_hi:[1,1,0]
	v_cvt_f16_f32_e32 v83, v19
	v_fma_mix_f32 v16, v49, v3, v16 op_sel_hi:[1,1,0]
	v_sub_u32_sdwa v17, v85, v37 dst_sel:DWORD dst_unused:UNUSED_PAD src0_sel:BYTE_1 src1_sel:DWORD
	v_fma_mix_f32 v16, v50, v3, v16 op_sel:[0,1,0] op_sel_hi:[1,1,0]
	v_sub_u32_sdwa v18, v85, v37 dst_sel:DWORD dst_unused:UNUSED_PAD src0_sel:BYTE_2 src1_sel:DWORD
	v_fma_mixlo_f16 v16, v16, v26, 0 op_sel_hi:[0,1,0]
	v_add_f16_e32 v78, v65, v16
	v_fma_mix_f32 v16, v54, v0, 0 op_sel_hi:[1,1,0]
	v_sub_u32_sdwa v19, v85, v37 dst_sel:DWORD dst_unused:UNUSED_PAD src0_sel:BYTE_3 src1_sel:DWORD
	v_fma_mix_f32 v16, v55, v0, v16 op_sel:[0,1,0] op_sel_hi:[1,1,0]
	v_cvt_f32_i32_e32 v17, v17
	v_fma_mix_f32 v16, v56, v1, v16 op_sel_hi:[1,1,0]
	v_cvt_f32_i32_e32 v18, v18
	v_fma_mix_f32 v16, v59, v1, v16 op_sel:[0,1,0] op_sel_hi:[1,1,0]
	v_cvt_f32_i32_e32 v19, v19
	v_fma_mix_f32 v16, v60, v2, v16 op_sel_hi:[1,1,0]
	v_cvt_f16_f32_e32 v85, v17
	v_fma_mix_f32 v16, v62, v2, v16 op_sel:[0,1,0] op_sel_hi:[1,1,0]
	v_cvt_f16_f32_e32 v86, v18
	v_fma_mix_f32 v16, v63, v3, v16 op_sel_hi:[1,1,0]
	v_cvt_f16_f32_e32 v87, v19
	v_fma_mix_f32 v16, v64, v3, v16 op_sel:[0,1,0] op_sel_hi:[1,1,0]
	v_sub_u32_sdwa v17, v89, v37 dst_sel:DWORD dst_unused:UNUSED_PAD src0_sel:BYTE_1 src1_sel:DWORD
	v_fma_mixlo_f16 v16, v16, v26, 0 op_sel:[0,1,0] op_sel_hi:[0,1,0]
	v_add_f16_e32 v71, v66, v16
	v_fma_mix_f32 v16, v69, v0, 0 op_sel_hi:[1,1,0]
	v_sub_u32_sdwa v18, v89, v37 dst_sel:DWORD dst_unused:UNUSED_PAD src0_sel:BYTE_2 src1_sel:DWORD
	v_fma_mix_f32 v16, v70, v0, v16 op_sel:[0,1,0] op_sel_hi:[1,1,0]
	v_sub_u32_sdwa v19, v89, v37 dst_sel:DWORD dst_unused:UNUSED_PAD src0_sel:BYTE_3 src1_sel:DWORD
	v_fma_mix_f32 v16, v74, v1, v16 op_sel_hi:[1,1,0]
	global_load_dwordx4 v[20:23], v[4:5], off
	v_fma_mix_f32 v16, v75, v1, v16 op_sel:[0,1,0] op_sel_hi:[1,1,0]
	v_cvt_f32_i32_e32 v17, v17
	v_fma_mix_f32 v16, v80, v2, v16 op_sel_hi:[1,1,0]
	v_cvt_f32_i32_e32 v18, v18
	v_fma_mix_f32 v16, v81, v2, v16 op_sel:[0,1,0] op_sel_hi:[1,1,0]
	v_cvt_f32_i32_e32 v19, v19
	v_fma_mix_f32 v16, v82, v3, v16 op_sel_hi:[1,1,0]
	v_cvt_f16_f32_e32 v89, v17
	v_fma_mix_f32 v16, v83, v3, v16 op_sel:[0,1,0] op_sel_hi:[1,1,0]
	v_cvt_f16_f32_e32 v90, v18
	v_fma_mixlo_f16 v16, v16, v27, 0 op_sel_hi:[0,1,0]
	v_add_f16_e32 v72, v67, v16
	v_fma_mix_f32 v16, v84, v0, 0 op_sel_hi:[1,1,0]
	v_cvt_f16_f32_e32 v91, v19
	v_fma_mix_f32 v0, v85, v0, v16 op_sel:[0,1,0] op_sel_hi:[1,1,0]
	global_load_dwordx4 v[16:19], v[30:31], off
	v_fma_mix_f32 v0, v86, v1, v0 op_sel_hi:[1,1,0]
	v_lshl_add_u64 v[30:31], v[30:31], 0, s[2:3]
	v_fma_mix_f32 v0, v87, v1, v0 op_sel:[0,1,0] op_sel_hi:[1,1,0]
	s_waitcnt lgkmcnt(1)
	v_fma_mix_f32 v1, v54, v8, 0 op_sel_hi:[1,1,0]
	v_fma_mix_f32 v0, v88, v2, v0 op_sel_hi:[1,1,0]
	v_fma_mix_f32 v1, v55, v8, v1 op_sel:[0,1,0] op_sel_hi:[1,1,0]
	v_fma_mix_f32 v0, v89, v2, v0 op_sel:[0,1,0] op_sel_hi:[1,1,0]
	v_fma_mix_f32 v2, v69, v8, 0 op_sel_hi:[1,1,0]
	v_fma_mix_f32 v0, v90, v3, v0 op_sel_hi:[1,1,0]
	;; [unrolled: 1-line block ×3, first 2 shown]
	v_fma_mix_f32 v0, v91, v3, v0 op_sel:[0,1,0] op_sel_hi:[1,1,0]
	v_fma_mix_f32 v2, v70, v8, v2 op_sel:[0,1,0] op_sel_hi:[1,1,0]
	v_fma_mixlo_f16 v0, v0, v27, 0 op_sel:[0,1,0] op_sel_hi:[0,1,0]
	v_add_f16_e32 v73, v68, v0
	v_fma_mix_f32 v0, v7, v8, 0 op_sel_hi:[1,1,0]
	v_fma_mix_f32 v3, v84, v8, 0 op_sel_hi:[1,1,0]
	v_fma_mix_f32 v0, v42, v8, v0 op_sel:[0,1,0] op_sel_hi:[1,1,0]
	v_fma_mix_f32 v1, v59, v9, v1 op_sel:[0,1,0] op_sel_hi:[1,1,0]
	v_fma_mix_f32 v0, v43, v9, v0 op_sel_hi:[1,1,0]
	v_fma_mix_f32 v2, v74, v9, v2 op_sel_hi:[1,1,0]
	v_fma_mix_f32 v0, v47, v9, v0 op_sel:[0,1,0] op_sel_hi:[1,1,0]
	v_fma_mix_f32 v3, v85, v8, v3 op_sel:[0,1,0] op_sel_hi:[1,1,0]
	;; [unrolled: 4-line block ×3, first 2 shown]
	v_fma_mix_f32 v3, v86, v9, v3 op_sel_hi:[1,1,0]
	v_fma_mix_f32 v0, v49, v11, v0 op_sel_hi:[1,1,0]
	v_fma_mix_f32 v1, v62, v10, v1 op_sel:[0,1,0] op_sel_hi:[1,1,0]
	v_fma_mix_f32 v2, v80, v10, v2 op_sel_hi:[1,1,0]
	v_fma_mix_f32 v3, v87, v9, v3 op_sel:[0,1,0] op_sel_hi:[1,1,0]
	v_fma_mix_f32 v0, v50, v11, v0 op_sel:[0,1,0] op_sel_hi:[1,1,0]
	v_fma_mix_f32 v1, v63, v11, v1 op_sel_hi:[1,1,0]
	v_fma_mix_f32 v2, v81, v10, v2 op_sel:[0,1,0] op_sel_hi:[1,1,0]
	v_fma_mix_f32 v3, v88, v10, v3 op_sel_hi:[1,1,0]
	;; [unrolled: 2-line block ×3, first 2 shown]
	v_fma_mix_f32 v3, v89, v10, v3 op_sel:[0,1,0] op_sel_hi:[1,1,0]
	v_fma_mixlo_f16 v0, v0, v26, 0 op_sel_hi:[0,1,0]
	v_fma_mix_f32 v2, v83, v11, v2 op_sel:[0,1,0] op_sel_hi:[1,1,0]
	v_fma_mix_f32 v3, v90, v11, v3 op_sel_hi:[1,1,0]
	v_add_f16_e32 v61, v76, v0
	v_fma_mixlo_f16 v0, v1, v26, 0 op_sel:[0,1,0] op_sel_hi:[0,1,0]
	v_fma_mix_f32 v3, v91, v11, v3 op_sel:[0,1,0] op_sel_hi:[1,1,0]
	v_add_f16_e32 v57, v77, v0
	v_fma_mixlo_f16 v0, v2, v27, 0 op_sel_hi:[0,1,0]
	v_add_f16_e32 v52, v79, v0
	v_fma_mixlo_f16 v0, v3, v27, 0 op_sel:[0,1,0] op_sel_hi:[0,1,0]
	v_add_f16_e32 v53, v6, v0
	s_waitcnt lgkmcnt(0)
	v_fma_mix_f32 v0, v7, v12, 0 op_sel_hi:[1,1,0]
	s_waitcnt vmcnt(1)
	v_sub_u32_sdwa v5, v20, v40 dst_sel:DWORD dst_unused:UNUSED_PAD src0_sel:BYTE_1 src1_sel:DWORD
	v_fma_mix_f32 v0, v42, v12, v0 op_sel:[0,1,0] op_sel_hi:[1,1,0]
	v_sub_u32_sdwa v10, v20, v40 dst_sel:DWORD dst_unused:UNUSED_PAD src0_sel:BYTE_2 src1_sel:DWORD
	v_fma_mix_f32 v0, v43, v13, v0 op_sel_hi:[1,1,0]
	v_sub_u32_sdwa v11, v20, v40 dst_sel:DWORD dst_unused:UNUSED_PAD src0_sel:BYTE_3 src1_sel:DWORD
	v_fma_mix_f32 v0, v47, v13, v0 op_sel:[0,1,0] op_sel_hi:[1,1,0]
	v_cvt_f32_i32_e32 v5, v5
	v_fma_mix_f32 v4, v51, v14, v0 op_sel_hi:[1,1,0]
	v_cvt_f32_i32_e32 v10, v10
	v_fma_mix_f32 v4, v48, v14, v4 op_sel:[0,1,0] op_sel_hi:[1,1,0]
	v_cvt_f32_i32_e32 v11, v11
	v_fma_mix_f32 v4, v49, v15, v4 op_sel_hi:[1,1,0]
	v_cvt_f16_f32_e32 v47, v10
	v_fma_mix_f32 v4, v50, v15, v4 op_sel:[0,1,0] op_sel_hi:[1,1,0]
	v_cvt_f16_f32_e32 v48, v11
	v_fma_mixlo_f16 v4, v4, v26, 0 op_sel_hi:[0,1,0]
	v_add_f16_e32 v42, v58, v4
	v_fma_mix_f32 v4, v54, v12, 0 op_sel_hi:[1,1,0]
	s_waitcnt vmcnt(0)
	v_sub_u32_sdwa v10, v16, v40 dst_sel:DWORD dst_unused:UNUSED_PAD src0_sel:BYTE_2 src1_sel:DWORD
	v_fma_mix_f32 v4, v55, v12, v4 op_sel:[0,1,0] op_sel_hi:[1,1,0]
	v_sub_u32_sdwa v11, v16, v40 dst_sel:DWORD dst_unused:UNUSED_PAD src0_sel:BYTE_3 src1_sel:DWORD
	v_fma_mix_f32 v4, v56, v13, v4 op_sel_hi:[1,1,0]
	v_cvt_f32_i32_e32 v10, v10
	v_fma_mix_f32 v4, v59, v13, v4 op_sel:[0,1,0] op_sel_hi:[1,1,0]
	v_cvt_f32_i32_e32 v11, v11
	v_fma_mix_f32 v4, v60, v14, v4 op_sel_hi:[1,1,0]
	ds_read_b128 v[6:9], v41 offset:32
	ds_read_b128 v[0:3], v41 offset:48
	v_fma_mix_f32 v4, v62, v14, v4 op_sel:[0,1,0] op_sel_hi:[1,1,0]
	v_cvt_f16_f32_e32 v49, v11
	v_fma_mix_f32 v4, v63, v15, v4 op_sel_hi:[1,1,0]
	v_sub_u32_sdwa v11, v21, v39 dst_sel:DWORD dst_unused:UNUSED_PAD src0_sel:BYTE_3 src1_sel:DWORD
	v_fma_mix_f32 v4, v64, v15, v4 op_sel:[0,1,0] op_sel_hi:[1,1,0]
	v_cvt_f32_i32_e32 v11, v11
	v_fma_mixlo_f16 v4, v4, v26, 0 op_sel:[0,1,0] op_sel_hi:[0,1,0]
	v_add_f16_e32 v43, v45, v4
	v_fma_mix_f32 v4, v69, v12, 0 op_sel_hi:[1,1,0]
	v_cvt_f16_f32_e32 v56, v11
	v_fma_mix_f32 v4, v70, v12, v4 op_sel:[0,1,0] op_sel_hi:[1,1,0]
	v_sub_u32_sdwa v11, v17, v39 dst_sel:DWORD dst_unused:UNUSED_PAD src0_sel:BYTE_3 src1_sel:DWORD
	v_fma_mix_f32 v4, v74, v13, v4 op_sel_hi:[1,1,0]
	v_cvt_f32_i32_e32 v11, v11
	v_fma_mix_f32 v4, v75, v13, v4 op_sel:[0,1,0] op_sel_hi:[1,1,0]
	v_cvt_f16_f32_e32 v60, v11
	v_fma_mix_f32 v4, v80, v14, v4 op_sel_hi:[1,1,0]
	v_sub_u32_sdwa v11, v22, v38 dst_sel:DWORD dst_unused:UNUSED_PAD src0_sel:BYTE_3 src1_sel:DWORD
	v_fma_mix_f32 v4, v81, v14, v4 op_sel:[0,1,0] op_sel_hi:[1,1,0]
	v_cvt_f32_i32_e32 v11, v11
	v_fma_mix_f32 v4, v82, v15, v4 op_sel_hi:[1,1,0]
	v_cvt_f16_f32_e32 v64, v11
	v_fma_mix_f32 v4, v83, v15, v4 op_sel:[0,1,0] op_sel_hi:[1,1,0]
	v_sub_u32_sdwa v11, v18, v38 dst_sel:DWORD dst_unused:UNUSED_PAD src0_sel:BYTE_3 src1_sel:DWORD
	v_fma_mixlo_f16 v4, v4, v27, 0 op_sel_hi:[0,1,0]
	v_add_f16_e32 v44, v44, v4
	v_fma_mix_f32 v4, v84, v12, 0 op_sel_hi:[1,1,0]
	v_cvt_f32_i32_e32 v11, v11
	v_fma_mix_f32 v4, v85, v12, v4 op_sel:[0,1,0] op_sel_hi:[1,1,0]
	global_load_dwordx4 v[82:85], v[30:31], off
	v_fma_mix_f32 v4, v86, v13, v4 op_sel_hi:[1,1,0]
	v_cvt_f16_f32_e32 v67, v11
	v_fma_mix_f32 v4, v87, v13, v4 op_sel:[0,1,0] op_sel_hi:[1,1,0]
	v_sub_u32_sdwa v11, v23, v37 dst_sel:DWORD dst_unused:UNUSED_PAD src0_sel:BYTE_3 src1_sel:DWORD
	v_fma_mix_f32 v4, v88, v14, v4 op_sel_hi:[1,1,0]
	v_cvt_f32_i32_e32 v11, v11
	v_fma_mix_f32 v4, v89, v14, v4 op_sel:[0,1,0] op_sel_hi:[1,1,0]
	v_lshl_add_u64 v[30:31], v[30:31], 0, s[2:3]
	v_fma_mix_f32 v4, v90, v15, v4 op_sel_hi:[1,1,0]
	v_cvt_f16_f32_e32 v70, v11
	v_fma_mix_f32 v4, v91, v15, v4 op_sel:[0,1,0] op_sel_hi:[1,1,0]
	v_sub_u32_sdwa v11, v19, v37 dst_sel:DWORD dst_unused:UNUSED_PAD src0_sel:BYTE_3 src1_sel:DWORD
	v_fma_mixlo_f16 v4, v4, v27, 0 op_sel:[0,1,0] op_sel_hi:[0,1,0]
	v_add_f16_e32 v45, v46, v4
	v_sub_u32_sdwa v4, v20, v40 dst_sel:DWORD dst_unused:UNUSED_PAD src0_sel:BYTE_0 src1_sel:DWORD
	v_cvt_f32_i32_e32 v4, v4
	v_cvt_f16_f32_e32 v46, v5
	v_sub_u32_sdwa v5, v16, v40 dst_sel:DWORD dst_unused:UNUSED_PAD src0_sel:BYTE_1 src1_sel:DWORD
	v_cvt_f32_i32_e32 v5, v5
	v_cvt_f16_f32_e32 v20, v4
	v_sub_u32_sdwa v4, v16, v40 dst_sel:DWORD dst_unused:UNUSED_PAD src0_sel:BYTE_0 src1_sel:DWORD
	v_cvt_f32_i32_e32 v4, v4
	v_cvt_f16_f32_e32 v51, v5
	v_cvt_f16_f32_e32 v16, v10
	v_sub_u32_sdwa v5, v21, v39 dst_sel:DWORD dst_unused:UNUSED_PAD src0_sel:BYTE_1 src1_sel:DWORD
	v_cvt_f16_f32_e32 v50, v4
	v_sub_u32_sdwa v4, v21, v39 dst_sel:DWORD dst_unused:UNUSED_PAD src0_sel:BYTE_0 src1_sel:DWORD
	v_cvt_f32_i32_e32 v4, v4
	v_sub_u32_sdwa v10, v21, v39 dst_sel:DWORD dst_unused:UNUSED_PAD src0_sel:BYTE_2 src1_sel:DWORD
	v_cvt_f32_i32_e32 v5, v5
	v_cvt_f32_i32_e32 v10, v10
	v_cvt_f16_f32_e32 v21, v4
	v_sub_u32_sdwa v4, v17, v39 dst_sel:DWORD dst_unused:UNUSED_PAD src0_sel:BYTE_0 src1_sel:DWORD
	v_cvt_f32_i32_e32 v4, v4
	v_cvt_f16_f32_e32 v54, v5
	v_cvt_f16_f32_e32 v55, v10
	v_sub_u32_sdwa v5, v17, v39 dst_sel:DWORD dst_unused:UNUSED_PAD src0_sel:BYTE_1 src1_sel:DWORD
	v_sub_u32_sdwa v10, v17, v39 dst_sel:DWORD dst_unused:UNUSED_PAD src0_sel:BYTE_2 src1_sel:DWORD
	v_cvt_f16_f32_e32 v17, v4
	v_sub_u32_sdwa v4, v22, v38 dst_sel:DWORD dst_unused:UNUSED_PAD src0_sel:BYTE_0 src1_sel:DWORD
	v_cvt_f32_i32_e32 v5, v5
	v_cvt_f32_i32_e32 v10, v10
	;; [unrolled: 1-line block ×3, first 2 shown]
	global_load_dwordx4 v[86:89], v[30:31], off
	v_cvt_f16_f32_e32 v58, v5
	v_cvt_f16_f32_e32 v59, v10
	v_sub_u32_sdwa v5, v22, v38 dst_sel:DWORD dst_unused:UNUSED_PAD src0_sel:BYTE_1 src1_sel:DWORD
	v_sub_u32_sdwa v10, v22, v38 dst_sel:DWORD dst_unused:UNUSED_PAD src0_sel:BYTE_2 src1_sel:DWORD
	v_cvt_f16_f32_e32 v22, v4
	v_sub_u32_sdwa v4, v18, v38 dst_sel:DWORD dst_unused:UNUSED_PAD src0_sel:BYTE_0 src1_sel:DWORD
	v_cvt_f32_i32_e32 v5, v5
	v_cvt_f32_i32_e32 v10, v10
	;; [unrolled: 1-line block ×4, first 2 shown]
	v_cvt_f16_f32_e32 v62, v5
	v_cvt_f16_f32_e32 v63, v10
	v_sub_u32_sdwa v5, v18, v38 dst_sel:DWORD dst_unused:UNUSED_PAD src0_sel:BYTE_1 src1_sel:DWORD
	v_sub_u32_sdwa v10, v18, v38 dst_sel:DWORD dst_unused:UNUSED_PAD src0_sel:BYTE_2 src1_sel:DWORD
	v_cvt_f16_f32_e32 v18, v4
	v_sub_u32_sdwa v4, v23, v37 dst_sel:DWORD dst_unused:UNUSED_PAD src0_sel:BYTE_0 src1_sel:DWORD
	v_cvt_f32_i32_e32 v5, v5
	v_cvt_f32_i32_e32 v10, v10
	v_cvt_f32_i32_e32 v4, v4
	v_cvt_f16_f32_e32 v77, v11
	v_cvt_f16_f32_e32 v65, v5
	;; [unrolled: 1-line block ×3, first 2 shown]
	v_sub_u32_sdwa v5, v23, v37 dst_sel:DWORD dst_unused:UNUSED_PAD src0_sel:BYTE_1 src1_sel:DWORD
	v_sub_u32_sdwa v10, v23, v37 dst_sel:DWORD dst_unused:UNUSED_PAD src0_sel:BYTE_2 src1_sel:DWORD
	v_cvt_f16_f32_e32 v23, v4
	v_sub_u32_sdwa v4, v19, v37 dst_sel:DWORD dst_unused:UNUSED_PAD src0_sel:BYTE_0 src1_sel:DWORD
	v_cvt_f32_i32_e32 v4, v4
	v_cvt_f32_i32_e32 v5, v5
	;; [unrolled: 1-line block ×3, first 2 shown]
	v_cvt_f16_f32_e32 v74, v4
	s_waitcnt lgkmcnt(1)
	v_fma_mix_f32 v4, v20, v6, 0 op_sel_hi:[1,1,0]
	v_cvt_f16_f32_e32 v68, v5
	v_fma_mix_f32 v4, v46, v6, v4 op_sel:[0,1,0] op_sel_hi:[1,1,0]
	v_cvt_f16_f32_e32 v69, v10
	v_fma_mix_f32 v4, v47, v7, v4 op_sel_hi:[1,1,0]
	v_sub_u32_sdwa v5, v19, v37 dst_sel:DWORD dst_unused:UNUSED_PAD src0_sel:BYTE_1 src1_sel:DWORD
	v_fma_mix_f32 v4, v48, v7, v4 op_sel:[0,1,0] op_sel_hi:[1,1,0]
	v_sub_u32_sdwa v10, v19, v37 dst_sel:DWORD dst_unused:UNUSED_PAD src0_sel:BYTE_2 src1_sel:DWORD
	v_fma_mix_f32 v4, v50, v8, v4 op_sel_hi:[1,1,0]
	v_cvt_f32_i32_e32 v5, v5
	v_fma_mix_f32 v4, v51, v8, v4 op_sel:[0,1,0] op_sel_hi:[1,1,0]
	v_cvt_f32_i32_e32 v10, v10
	v_fma_mix_f32 v4, v16, v9, v4 op_sel_hi:[1,1,0]
	v_cvt_f16_f32_e32 v75, v5
	v_fma_mix_f32 v4, v49, v9, v4 op_sel:[0,1,0] op_sel_hi:[1,1,0]
	v_cvt_f16_f32_e32 v76, v10
	v_fma_mixlo_f16 v4, v4, v26, 0 op_sel_hi:[0,1,0]
	v_add_f16_e32 v19, v78, v4
	v_fma_mix_f32 v4, v21, v6, 0 op_sel_hi:[1,1,0]
	s_nop 0
	v_fma_mix_f32 v4, v54, v6, v4 op_sel:[0,1,0] op_sel_hi:[1,1,0]
	s_nop 0
	v_fma_mix_f32 v4, v55, v7, v4 op_sel_hi:[1,1,0]
	s_nop 0
	v_fma_mix_f32 v4, v56, v7, v4 op_sel:[0,1,0] op_sel_hi:[1,1,0]
	s_nop 0
	;; [unrolled: 4-line block ×4, first 2 shown]
	v_fma_mixlo_f16 v4, v4, v26, 0 op_sel:[0,1,0] op_sel_hi:[0,1,0]
	v_add_f16_e32 v71, v71, v4
	v_fma_mix_f32 v4, v22, v6, 0 op_sel_hi:[1,1,0]
	s_nop 0
	v_fma_mix_f32 v4, v62, v6, v4 op_sel:[0,1,0] op_sel_hi:[1,1,0]
	s_nop 0
	v_fma_mix_f32 v4, v63, v7, v4 op_sel_hi:[1,1,0]
	s_nop 0
	v_fma_mix_f32 v4, v64, v7, v4 op_sel:[0,1,0] op_sel_hi:[1,1,0]
	s_nop 0
	;; [unrolled: 4-line block ×4, first 2 shown]
	v_fma_mixlo_f16 v4, v4, v27, 0 op_sel_hi:[0,1,0]
	v_add_f16_e32 v72, v72, v4
	v_fma_mix_f32 v4, v23, v6, 0 op_sel_hi:[1,1,0]
	s_nop 0
	v_fma_mix_f32 v4, v68, v6, v4 op_sel:[0,1,0] op_sel_hi:[1,1,0]
	s_nop 0
	v_fma_mix_f32 v4, v69, v7, v4 op_sel_hi:[1,1,0]
	s_nop 0
	v_fma_mix_f32 v4, v70, v7, v4 op_sel:[0,1,0] op_sel_hi:[1,1,0]
	s_nop 0
	;; [unrolled: 4-line block ×3, first 2 shown]
	v_fma_mix_f32 v8, v76, v9, v4 op_sel_hi:[1,1,0]
	ds_read_b128 v[4:7], v41 offset:288
	v_fma_mix_f32 v8, v77, v9, v8 op_sel:[0,1,0] op_sel_hi:[1,1,0]
	s_nop 0
	v_fma_mixlo_f16 v8, v8, v27, 0 op_sel:[0,1,0] op_sel_hi:[0,1,0]
	v_add_f16_e32 v73, v73, v8
	ds_read_b128 v[8:11], v41 offset:304
	s_waitcnt lgkmcnt(1)
	v_fma_mix_f32 v12, v20, v4, 0 op_sel_hi:[1,1,0]
	s_nop 0
	v_fma_mix_f32 v12, v46, v4, v12 op_sel:[0,1,0] op_sel_hi:[1,1,0]
	s_nop 0
	v_fma_mix_f32 v12, v47, v5, v12 op_sel_hi:[1,1,0]
	s_nop 0
	v_fma_mix_f32 v12, v48, v5, v12 op_sel:[0,1,0] op_sel_hi:[1,1,0]
	s_nop 0
	;; [unrolled: 4-line block ×4, first 2 shown]
	v_fma_mixlo_f16 v12, v12, v26, 0 op_sel_hi:[0,1,0]
	v_add_f16_e32 v78, v61, v12
	v_fma_mix_f32 v12, v21, v4, 0 op_sel_hi:[1,1,0]
	s_nop 0
	v_fma_mix_f32 v12, v54, v4, v12 op_sel:[0,1,0] op_sel_hi:[1,1,0]
	s_nop 0
	v_fma_mix_f32 v12, v55, v5, v12 op_sel_hi:[1,1,0]
	s_nop 0
	v_fma_mix_f32 v12, v56, v5, v12 op_sel:[0,1,0] op_sel_hi:[1,1,0]
	s_nop 0
	;; [unrolled: 4-line block ×4, first 2 shown]
	v_fma_mixlo_f16 v12, v12, v26, 0 op_sel:[0,1,0] op_sel_hi:[0,1,0]
	v_add_f16_e32 v79, v57, v12
	v_fma_mix_f32 v12, v22, v4, 0 op_sel_hi:[1,1,0]
	s_nop 0
	v_fma_mix_f32 v12, v62, v4, v12 op_sel:[0,1,0] op_sel_hi:[1,1,0]
	s_nop 0
	v_fma_mix_f32 v12, v63, v5, v12 op_sel_hi:[1,1,0]
	s_nop 0
	v_fma_mix_f32 v12, v64, v5, v12 op_sel:[0,1,0] op_sel_hi:[1,1,0]
	s_nop 0
	;; [unrolled: 4-line block ×4, first 2 shown]
	v_fma_mixlo_f16 v57, v12, v27, 0 op_sel_hi:[0,1,0]
	v_fma_mix_f32 v12, v23, v4, 0 op_sel_hi:[1,1,0]
	v_add_f16_e32 v81, v52, v57
	v_fma_mix_f32 v4, v68, v4, v12 op_sel:[0,1,0] op_sel_hi:[1,1,0]
	ds_read_b128 v[12:15], v41 offset:544
	v_fma_mix_f32 v4, v69, v5, v4 op_sel_hi:[1,1,0]
	s_nop 0
	v_fma_mix_f32 v4, v70, v5, v4 op_sel:[0,1,0] op_sel_hi:[1,1,0]
	s_nop 0
	v_fma_mix_f32 v4, v74, v6, v4 op_sel_hi:[1,1,0]
	s_nop 0
	v_fma_mix_f32 v4, v75, v6, v4 op_sel:[0,1,0] op_sel_hi:[1,1,0]
	s_nop 0
	;; [unrolled: 4-line block ×3, first 2 shown]
	v_fma_mixlo_f16 v4, v4, v27, 0 op_sel:[0,1,0] op_sel_hi:[0,1,0]
	v_add_f16_e32 v80, v53, v4
	ds_read_b128 v[4:7], v41 offset:560
	s_waitcnt lgkmcnt(1)
	v_fma_mix_f32 v20, v20, v12, 0 op_sel_hi:[1,1,0]
	s_nop 0
	v_fma_mix_f32 v20, v46, v12, v20 op_sel:[0,1,0] op_sel_hi:[1,1,0]
	s_nop 0
	v_fma_mix_f32 v20, v47, v13, v20 op_sel_hi:[1,1,0]
	s_nop 0
	v_fma_mix_f32 v20, v48, v13, v20 op_sel:[0,1,0] op_sel_hi:[1,1,0]
	s_nop 0
	;; [unrolled: 4-line block ×4, first 2 shown]
	v_fma_mixlo_f16 v16, v16, v26, 0 op_sel_hi:[0,1,0]
	v_add_f16_e32 v20, v42, v16
	v_fma_mix_f32 v16, v21, v12, 0 op_sel_hi:[1,1,0]
	s_nop 0
	v_fma_mix_f32 v16, v54, v12, v16 op_sel:[0,1,0] op_sel_hi:[1,1,0]
	s_nop 0
	v_fma_mix_f32 v16, v55, v13, v16 op_sel_hi:[1,1,0]
	s_nop 0
	v_fma_mix_f32 v16, v56, v13, v16 op_sel:[0,1,0] op_sel_hi:[1,1,0]
	s_nop 0
	v_fma_mix_f32 v16, v17, v14, v16 op_sel_hi:[1,1,0]
	v_fma_mix_f32 v17, v23, v12, 0 op_sel_hi:[1,1,0]
	v_fma_mix_f32 v16, v58, v14, v16 op_sel:[0,1,0] op_sel_hi:[1,1,0]
	s_nop 0
	v_fma_mix_f32 v16, v59, v15, v16 op_sel_hi:[1,1,0]
	s_nop 0
	v_fma_mix_f32 v16, v60, v15, v16 op_sel:[0,1,0] op_sel_hi:[1,1,0]
	s_nop 0
	v_fma_mixlo_f16 v16, v16, v26, 0 op_sel:[0,1,0] op_sel_hi:[0,1,0]
	v_add_f16_e32 v21, v43, v16
	v_fma_mix_f32 v16, v22, v12, 0 op_sel_hi:[1,1,0]
	s_nop 0
	v_fma_mix_f32 v16, v62, v12, v16 op_sel:[0,1,0] op_sel_hi:[1,1,0]
	v_fma_mix_f32 v12, v68, v12, v17 op_sel:[0,1,0] op_sel_hi:[1,1,0]
	v_fma_mix_f32 v16, v63, v13, v16 op_sel_hi:[1,1,0]
	v_fma_mix_f32 v12, v69, v13, v12 op_sel_hi:[1,1,0]
	v_fma_mix_f32 v16, v64, v13, v16 op_sel:[0,1,0] op_sel_hi:[1,1,0]
	v_fma_mix_f32 v12, v70, v13, v12 op_sel:[0,1,0] op_sel_hi:[1,1,0]
	s_waitcnt vmcnt(1)
	v_sub_u32_sdwa v13, v82, v40 dst_sel:DWORD dst_unused:UNUSED_PAD src0_sel:BYTE_1 src1_sel:DWORD
	v_fma_mix_f32 v12, v74, v14, v12 op_sel_hi:[1,1,0]
	v_cvt_f32_i32_e32 v13, v13
	v_fma_mix_f32 v12, v75, v14, v12 op_sel:[0,1,0] op_sel_hi:[1,1,0]
	v_fma_mix_f32 v16, v18, v14, v16 op_sel_hi:[1,1,0]
	v_fma_mix_f32 v12, v76, v15, v12 op_sel_hi:[1,1,0]
	v_fma_mix_f32 v16, v65, v14, v16 op_sel:[0,1,0] op_sel_hi:[1,1,0]
	v_fma_mix_f32 v12, v77, v15, v12 op_sel:[0,1,0] op_sel_hi:[1,1,0]
	v_fma_mix_f32 v16, v66, v15, v16 op_sel_hi:[1,1,0]
	v_fma_mixlo_f16 v12, v12, v27, 0 op_sel:[0,1,0] op_sel_hi:[0,1,0]
	v_add_f16_e32 v17, v45, v12
	v_sub_u32_sdwa v12, v82, v40 dst_sel:DWORD dst_unused:UNUSED_PAD src0_sel:BYTE_0 src1_sel:DWORD
	v_cvt_f32_i32_e32 v12, v12
	v_fma_mix_f32 v16, v67, v15, v16 op_sel:[0,1,0] op_sel_hi:[1,1,0]
	v_sub_u32_sdwa v14, v82, v40 dst_sel:DWORD dst_unused:UNUSED_PAD src0_sel:BYTE_2 src1_sel:DWORD
	v_sub_u32_sdwa v15, v82, v40 dst_sel:DWORD dst_unused:UNUSED_PAD src0_sel:BYTE_3 src1_sel:DWORD
	v_cvt_f16_f32_e32 v18, v12
	v_cvt_f16_f32_e32 v22, v13
	s_waitcnt vmcnt(0)
	v_sub_u32_sdwa v12, v86, v40 dst_sel:DWORD dst_unused:UNUSED_PAD src0_sel:BYTE_0 src1_sel:DWORD
	v_sub_u32_sdwa v13, v86, v40 dst_sel:DWORD dst_unused:UNUSED_PAD src0_sel:BYTE_1 src1_sel:DWORD
	v_cvt_f32_i32_e32 v14, v14
	v_cvt_f32_i32_e32 v15, v15
	;; [unrolled: 1-line block ×4, first 2 shown]
	v_cvt_f16_f32_e32 v23, v14
	v_cvt_f16_f32_e32 v30, v15
	v_sub_u32_sdwa v14, v86, v40 dst_sel:DWORD dst_unused:UNUSED_PAD src0_sel:BYTE_2 src1_sel:DWORD
	v_sub_u32_sdwa v15, v86, v40 dst_sel:DWORD dst_unused:UNUSED_PAD src0_sel:BYTE_3 src1_sel:DWORD
	v_cvt_f16_f32_e32 v31, v12
	v_cvt_f16_f32_e32 v40, v13
	v_sub_u32_sdwa v12, v83, v39 dst_sel:DWORD dst_unused:UNUSED_PAD src0_sel:BYTE_0 src1_sel:DWORD
	v_sub_u32_sdwa v13, v83, v39 dst_sel:DWORD dst_unused:UNUSED_PAD src0_sel:BYTE_1 src1_sel:DWORD
	v_cvt_f32_i32_e32 v14, v14
	v_cvt_f32_i32_e32 v15, v15
	;; [unrolled: 1-line block ×4, first 2 shown]
	v_fma_mixlo_f16 v16, v16, v27, 0 op_sel_hi:[0,1,0]
	v_add_f16_e32 v16, v44, v16
	v_cvt_f16_f32_e32 v41, v14
	v_cvt_f16_f32_e32 v42, v15
	v_sub_u32_sdwa v14, v83, v39 dst_sel:DWORD dst_unused:UNUSED_PAD src0_sel:BYTE_2 src1_sel:DWORD
	v_sub_u32_sdwa v15, v83, v39 dst_sel:DWORD dst_unused:UNUSED_PAD src0_sel:BYTE_3 src1_sel:DWORD
	v_cvt_f16_f32_e32 v43, v12
	v_cvt_f16_f32_e32 v44, v13
	v_sub_u32_sdwa v12, v87, v39 dst_sel:DWORD dst_unused:UNUSED_PAD src0_sel:BYTE_0 src1_sel:DWORD
	v_sub_u32_sdwa v13, v87, v39 dst_sel:DWORD dst_unused:UNUSED_PAD src0_sel:BYTE_1 src1_sel:DWORD
	v_cvt_f32_i32_e32 v14, v14
	v_cvt_f32_i32_e32 v15, v15
	v_cvt_f32_i32_e32 v12, v12
	v_cvt_f32_i32_e32 v13, v13
	v_cvt_f16_f32_e32 v45, v14
	v_cvt_f16_f32_e32 v46, v15
	v_sub_u32_sdwa v14, v87, v39 dst_sel:DWORD dst_unused:UNUSED_PAD src0_sel:BYTE_2 src1_sel:DWORD
	v_sub_u32_sdwa v15, v87, v39 dst_sel:DWORD dst_unused:UNUSED_PAD src0_sel:BYTE_3 src1_sel:DWORD
	v_cvt_f16_f32_e32 v39, v12
	v_cvt_f16_f32_e32 v47, v13
	v_sub_u32_sdwa v12, v84, v38 dst_sel:DWORD dst_unused:UNUSED_PAD src0_sel:BYTE_0 src1_sel:DWORD
	v_sub_u32_sdwa v13, v84, v38 dst_sel:DWORD dst_unused:UNUSED_PAD src0_sel:BYTE_1 src1_sel:DWORD
	v_cvt_f32_i32_e32 v14, v14
	v_cvt_f32_i32_e32 v15, v15
	v_cvt_f32_i32_e32 v12, v12
	v_cvt_f32_i32_e32 v13, v13
	;; [unrolled: 12-line block ×5, first 2 shown]
	v_cvt_f16_f32_e32 v59, v14
	v_cvt_f16_f32_e32 v60, v15
	v_sub_u32_sdwa v14, v89, v37 dst_sel:DWORD dst_unused:UNUSED_PAD src0_sel:BYTE_2 src1_sel:DWORD
	v_sub_u32_sdwa v15, v89, v37 dst_sel:DWORD dst_unused:UNUSED_PAD src0_sel:BYTE_3 src1_sel:DWORD
	v_cvt_f16_f32_e32 v37, v12
	v_cvt_f16_f32_e32 v61, v13
	v_fma_mix_f32 v12, v18, v0, 0 op_sel_hi:[1,1,0]
	v_fma_mix_f32 v13, v43, v0, 0 op_sel_hi:[1,1,0]
	v_fma_mix_f32 v12, v22, v0, v12 op_sel:[0,1,0] op_sel_hi:[1,1,0]
	v_fma_mix_f32 v13, v44, v0, v13 op_sel:[0,1,0] op_sel_hi:[1,1,0]
	v_fma_mix_f32 v12, v23, v1, v12 op_sel_hi:[1,1,0]
	v_fma_mix_f32 v13, v45, v1, v13 op_sel_hi:[1,1,0]
	v_fma_mix_f32 v12, v30, v1, v12 op_sel:[0,1,0] op_sel_hi:[1,1,0]
	v_fma_mix_f32 v13, v46, v1, v13 op_sel:[0,1,0] op_sel_hi:[1,1,0]
	v_fma_mix_f32 v12, v31, v2, v12 op_sel_hi:[1,1,0]
	v_fma_mix_f32 v13, v39, v2, v13 op_sel_hi:[1,1,0]
	v_fma_mix_f32 v12, v40, v2, v12 op_sel:[0,1,0] op_sel_hi:[1,1,0]
	v_fma_mix_f32 v13, v47, v2, v13 op_sel:[0,1,0] op_sel_hi:[1,1,0]
	v_cvt_f32_i32_e32 v15, v15
	v_fma_mix_f32 v12, v41, v3, v12 op_sel_hi:[1,1,0]
	v_fma_mix_f32 v13, v48, v3, v13 op_sel_hi:[1,1,0]
	v_fma_mix_f32 v12, v42, v3, v12 op_sel:[0,1,0] op_sel_hi:[1,1,0]
	v_fma_mix_f32 v13, v49, v3, v13 op_sel:[0,1,0] op_sel_hi:[1,1,0]
	v_cvt_f32_i32_e32 v14, v14
	v_fma_mixlo_f16 v12, v12, v26, 0 op_sel_hi:[0,1,0]
	v_fma_mixlo_f16 v13, v13, v26, 0 op_sel:[0,1,0] op_sel_hi:[0,1,0]
	v_add_f16_e32 v12, v19, v12
	v_add_f16_e32 v13, v71, v13
	v_cvt_f16_f32_e32 v63, v15
	v_pack_b32_f16 v15, v12, v13
	v_fma_mix_f32 v12, v50, v0, 0 op_sel_hi:[1,1,0]
	v_fma_mix_f32 v13, v57, v0, 0 op_sel_hi:[1,1,0]
	v_fma_mix_f32 v12, v51, v0, v12 op_sel:[0,1,0] op_sel_hi:[1,1,0]
	v_fma_mix_f32 v0, v58, v0, v13 op_sel:[0,1,0] op_sel_hi:[1,1,0]
	v_cvt_f16_f32_e32 v62, v14
	v_fma_mix_f32 v12, v52, v1, v12 op_sel_hi:[1,1,0]
	v_fma_mix_f32 v0, v59, v1, v0 op_sel_hi:[1,1,0]
	v_fma_mix_f32 v12, v53, v1, v12 op_sel:[0,1,0] op_sel_hi:[1,1,0]
	v_fma_mix_f32 v0, v60, v1, v0 op_sel:[0,1,0] op_sel_hi:[1,1,0]
	v_fma_mix_f32 v12, v38, v2, v12 op_sel_hi:[1,1,0]
	v_fma_mix_f32 v0, v37, v2, v0 op_sel_hi:[1,1,0]
	v_fma_mix_f32 v12, v54, v2, v12 op_sel:[0,1,0] op_sel_hi:[1,1,0]
	v_fma_mix_f32 v0, v61, v2, v0 op_sel:[0,1,0] op_sel_hi:[1,1,0]
	;; [unrolled: 4-line block ×3, first 2 shown]
	v_fma_mixlo_f16 v12, v12, v27, 0 op_sel_hi:[0,1,0]
	v_fma_mixlo_f16 v0, v0, v27, 0 op_sel:[0,1,0] op_sel_hi:[0,1,0]
	v_add_f16_e32 v12, v72, v12
	v_add_f16_e32 v0, v73, v0
	v_pack_b32_f16 v14, v12, v0
	v_fma_mix_f32 v0, v18, v8, 0 op_sel_hi:[1,1,0]
	v_fma_mix_f32 v1, v43, v8, 0 op_sel_hi:[1,1,0]
	v_fma_mix_f32 v0, v22, v8, v0 op_sel:[0,1,0] op_sel_hi:[1,1,0]
	v_fma_mix_f32 v1, v44, v8, v1 op_sel:[0,1,0] op_sel_hi:[1,1,0]
	v_fma_mix_f32 v0, v23, v9, v0 op_sel_hi:[1,1,0]
	v_fma_mix_f32 v1, v45, v9, v1 op_sel_hi:[1,1,0]
	v_fma_mix_f32 v0, v30, v9, v0 op_sel:[0,1,0] op_sel_hi:[1,1,0]
	v_fma_mix_f32 v1, v46, v9, v1 op_sel:[0,1,0] op_sel_hi:[1,1,0]
	;; [unrolled: 4-line block ×4, first 2 shown]
	v_fma_mixlo_f16 v0, v0, v26, 0 op_sel_hi:[0,1,0]
	v_fma_mixlo_f16 v1, v1, v26, 0 op_sel:[0,1,0] op_sel_hi:[0,1,0]
	v_add_f16_e32 v0, v78, v0
	v_add_f16_e32 v1, v79, v1
	v_pack_b32_f16 v13, v0, v1
	v_fma_mix_f32 v0, v50, v8, 0 op_sel_hi:[1,1,0]
	v_fma_mix_f32 v1, v57, v8, 0 op_sel_hi:[1,1,0]
	v_fma_mix_f32 v0, v51, v8, v0 op_sel:[0,1,0] op_sel_hi:[1,1,0]
	v_fma_mix_f32 v1, v58, v8, v1 op_sel:[0,1,0] op_sel_hi:[1,1,0]
	v_fma_mix_f32 v0, v52, v9, v0 op_sel_hi:[1,1,0]
	v_fma_mix_f32 v1, v59, v9, v1 op_sel_hi:[1,1,0]
	v_fma_mix_f32 v0, v53, v9, v0 op_sel:[0,1,0] op_sel_hi:[1,1,0]
	v_fma_mix_f32 v1, v60, v9, v1 op_sel:[0,1,0] op_sel_hi:[1,1,0]
	;; [unrolled: 4-line block ×4, first 2 shown]
	v_fma_mixlo_f16 v0, v0, v27, 0 op_sel_hi:[0,1,0]
	v_fma_mixlo_f16 v1, v1, v27, 0 op_sel:[0,1,0] op_sel_hi:[0,1,0]
	v_add_f16_e32 v0, v81, v0
	v_add_f16_e32 v1, v80, v1
	v_pack_b32_f16 v12, v0, v1
	s_waitcnt lgkmcnt(0)
	v_fma_mix_f32 v0, v18, v4, 0 op_sel_hi:[1,1,0]
	v_fma_mix_f32 v1, v43, v4, 0 op_sel_hi:[1,1,0]
	v_fma_mix_f32 v0, v22, v4, v0 op_sel:[0,1,0] op_sel_hi:[1,1,0]
	v_fma_mix_f32 v1, v44, v4, v1 op_sel:[0,1,0] op_sel_hi:[1,1,0]
	v_fma_mix_f32 v0, v23, v5, v0 op_sel_hi:[1,1,0]
	v_fma_mix_f32 v1, v45, v5, v1 op_sel_hi:[1,1,0]
	v_fma_mix_f32 v0, v30, v5, v0 op_sel:[0,1,0] op_sel_hi:[1,1,0]
	v_fma_mix_f32 v1, v46, v5, v1 op_sel:[0,1,0] op_sel_hi:[1,1,0]
	;; [unrolled: 4-line block ×4, first 2 shown]
	v_fma_mixlo_f16 v0, v0, v26, 0 op_sel_hi:[0,1,0]
	v_fma_mixlo_f16 v1, v1, v26, 0 op_sel:[0,1,0] op_sel_hi:[0,1,0]
	v_add_f16_e32 v0, v20, v0
	v_add_f16_e32 v1, v21, v1
	v_pack_b32_f16 v23, v0, v1
	v_fma_mix_f32 v0, v50, v4, 0 op_sel_hi:[1,1,0]
	v_fma_mix_f32 v1, v57, v4, 0 op_sel_hi:[1,1,0]
	v_fma_mix_f32 v0, v51, v4, v0 op_sel:[0,1,0] op_sel_hi:[1,1,0]
	v_fma_mix_f32 v1, v58, v4, v1 op_sel:[0,1,0] op_sel_hi:[1,1,0]
	v_fma_mix_f32 v0, v52, v5, v0 op_sel_hi:[1,1,0]
	v_fma_mix_f32 v1, v59, v5, v1 op_sel_hi:[1,1,0]
	v_fma_mix_f32 v0, v53, v5, v0 op_sel:[0,1,0] op_sel_hi:[1,1,0]
	v_fma_mix_f32 v1, v60, v5, v1 op_sel:[0,1,0] op_sel_hi:[1,1,0]
	;; [unrolled: 4-line block ×4, first 2 shown]
	v_fma_mixlo_f16 v0, v0, v27, 0 op_sel_hi:[0,1,0]
	v_fma_mixlo_f16 v1, v1, v27, 0 op_sel:[0,1,0] op_sel_hi:[0,1,0]
	v_add_f16_e32 v0, v16, v0
	v_add_f16_e32 v1, v17, v1
	v_pack_b32_f16 v22, v0, v1
	s_cbranch_scc1 .LBB26_14
.LBB26_12:                              ; =>This Inner Loop Header: Depth=1
	s_cmp_lg_u32 s25, s7
	s_cbranch_scc1 .LBB26_11
; %bb.13:                               ;   in Loop: Header=BB26_12 Depth=1
	s_add_i32 s6, s6, 1
	s_mul_i32 s8, s6, s16
	s_ashr_i32 s9, s8, 31
	s_lshr_b32 s9, s9, 30
	s_add_i32 s9, s8, s9
	s_ashr_i32 s9, s9, 2
	v_add_u32_e32 v0, s9, v32
	v_ashrrev_i32_e32 v1, 31, v0
	v_lshl_add_u64 v[0:1], v[0:1], 2, s[10:11]
	global_load_dword v2, v[0:1], off
	v_add_u32_e32 v0, s8, v24
	v_ashrrev_i32_e32 v1, 31, v0
	v_lshl_add_u64 v[0:1], v[0:1], 1, s[12:13]
	global_load_dwordx2 v[26:27], v[0:1], off
	s_add_i32 s7, s7, s5
	s_waitcnt vmcnt(1)
	v_and_b32_e32 v25, 0xff, v2
	v_bfe_u32 v34, v2, 8, 8
	v_bfe_u32 v35, v2, 16, 8
	v_lshrrev_b32_e32 v36, 24, v2
	s_branch .LBB26_11
.LBB26_14:
	s_mul_i32 s24, s24, s16
	v_add_u32_e32 v0, s24, v24
	v_ashrrev_i32_e32 v1, 31, v0
	v_lshl_add_u64 v[2:3], v[0:1], 1, s[14:15]
	global_load_dword v5, v[2:3], off
	s_mov_b64 s[0:1], 0
.LBB26_15:                              ; =>This Inner Loop Header: Depth=1
	s_waitcnt vmcnt(0)
	v_pk_add_f16 v4, v15, v5
	global_atomic_cmpswap v1, v[2:3], v[4:5], off sc0
	s_waitcnt vmcnt(0)
	v_cmp_eq_u32_e32 vcc, v5, v1
	s_or_b64 s[0:1], vcc, s[0:1]
	v_mov_b32_e32 v5, v1
	s_andn2_b64 exec, exec, s[0:1]
	s_cbranch_execnz .LBB26_15
; %bb.16:
	s_or_b64 exec, exec, s[0:1]
	global_load_dword v5, v[2:3], off offset:4
	s_mov_b64 s[0:1], 0
.LBB26_17:                              ; =>This Inner Loop Header: Depth=1
	s_waitcnt vmcnt(0)
	v_pk_add_f16 v4, v14, v5
	global_atomic_cmpswap v1, v[2:3], v[4:5], off offset:4 sc0
	s_waitcnt vmcnt(0)
	v_cmp_eq_u32_e32 vcc, v5, v1
	s_or_b64 s[0:1], vcc, s[0:1]
	v_mov_b32_e32 v5, v1
	s_andn2_b64 exec, exec, s[0:1]
	s_cbranch_execnz .LBB26_17
; %bb.18:
	s_or_b64 exec, exec, s[0:1]
	v_add_u32_e32 v0, s16, v0
	v_ashrrev_i32_e32 v1, 31, v0
	v_lshl_add_u64 v[2:3], v[0:1], 1, s[14:15]
	global_load_dword v5, v[2:3], off
	s_mov_b64 s[0:1], 0
.LBB26_19:                              ; =>This Inner Loop Header: Depth=1
	s_waitcnt vmcnt(0)
	v_pk_add_f16 v4, v13, v5
	global_atomic_cmpswap v1, v[2:3], v[4:5], off sc0
	s_waitcnt vmcnt(0)
	v_cmp_eq_u32_e32 vcc, v5, v1
	s_or_b64 s[0:1], vcc, s[0:1]
	v_mov_b32_e32 v5, v1
	s_andn2_b64 exec, exec, s[0:1]
	s_cbranch_execnz .LBB26_19
; %bb.20:
	s_or_b64 exec, exec, s[0:1]
	global_load_dword v5, v[2:3], off offset:4
	s_mov_b64 s[0:1], 0
.LBB26_21:                              ; =>This Inner Loop Header: Depth=1
	s_waitcnt vmcnt(0)
	v_pk_add_f16 v4, v12, v5
	global_atomic_cmpswap v1, v[2:3], v[4:5], off offset:4 sc0
	s_waitcnt vmcnt(0)
	v_cmp_eq_u32_e32 vcc, v5, v1
	s_or_b64 s[0:1], vcc, s[0:1]
	v_mov_b32_e32 v5, v1
	s_andn2_b64 exec, exec, s[0:1]
	s_cbranch_execnz .LBB26_21
; %bb.22:
	s_or_b64 exec, exec, s[0:1]
	v_add_u32_e32 v0, s16, v0
	v_ashrrev_i32_e32 v1, 31, v0
	v_lshl_add_u64 v[0:1], v[0:1], 1, s[14:15]
	global_load_dword v3, v[0:1], off
	s_mov_b64 s[0:1], 0
.LBB26_23:                              ; =>This Inner Loop Header: Depth=1
	s_waitcnt vmcnt(0)
	v_pk_add_f16 v2, v23, v3
	global_atomic_cmpswap v2, v[0:1], v[2:3], off sc0
	s_waitcnt vmcnt(0)
	v_cmp_eq_u32_e32 vcc, v3, v2
	s_or_b64 s[0:1], vcc, s[0:1]
	v_mov_b32_e32 v3, v2
	s_andn2_b64 exec, exec, s[0:1]
	s_cbranch_execnz .LBB26_23
; %bb.24:
	s_or_b64 exec, exec, s[0:1]
	global_load_dword v3, v[0:1], off offset:4
	s_mov_b64 s[0:1], 0
.LBB26_25:                              ; =>This Inner Loop Header: Depth=1
	s_waitcnt vmcnt(0)
	v_pk_add_f16 v2, v22, v3
	global_atomic_cmpswap v2, v[0:1], v[2:3], off offset:4 sc0
	s_waitcnt vmcnt(0)
	v_cmp_eq_u32_e32 vcc, v3, v2
	s_or_b64 s[0:1], vcc, s[0:1]
	v_mov_b32_e32 v3, v2
	s_andn2_b64 exec, exec, s[0:1]
	s_cbranch_execnz .LBB26_25
.LBB26_26:
	s_endpgm
	.section	.rodata,"a",@progbits
	.p2align	6, 0x0
	.amdhsa_kernel _ZN4vllm4gptq33gemm_half_q_half_gptq_8bit_kernelILb1ELi3EEEvPK6__halfPKjS6_S4_PS2_iiiibPKi
		.amdhsa_group_segment_fixed_size 768
		.amdhsa_private_segment_fixed_size 0
		.amdhsa_kernarg_size 72
		.amdhsa_user_sgpr_count 2
		.amdhsa_user_sgpr_dispatch_ptr 0
		.amdhsa_user_sgpr_queue_ptr 0
		.amdhsa_user_sgpr_kernarg_segment_ptr 1
		.amdhsa_user_sgpr_dispatch_id 0
		.amdhsa_user_sgpr_kernarg_preload_length 0
		.amdhsa_user_sgpr_kernarg_preload_offset 0
		.amdhsa_user_sgpr_private_segment_size 0
		.amdhsa_uses_dynamic_stack 0
		.amdhsa_enable_private_segment 0
		.amdhsa_system_sgpr_workgroup_id_x 1
		.amdhsa_system_sgpr_workgroup_id_y 1
		.amdhsa_system_sgpr_workgroup_id_z 1
		.amdhsa_system_sgpr_workgroup_info 0
		.amdhsa_system_vgpr_workitem_id 0
		.amdhsa_next_free_vgpr 92
		.amdhsa_next_free_sgpr 27
		.amdhsa_accum_offset 92
		.amdhsa_reserve_vcc 1
		.amdhsa_float_round_mode_32 0
		.amdhsa_float_round_mode_16_64 0
		.amdhsa_float_denorm_mode_32 3
		.amdhsa_float_denorm_mode_16_64 3
		.amdhsa_dx10_clamp 1
		.amdhsa_ieee_mode 1
		.amdhsa_fp16_overflow 0
		.amdhsa_tg_split 0
		.amdhsa_exception_fp_ieee_invalid_op 0
		.amdhsa_exception_fp_denorm_src 0
		.amdhsa_exception_fp_ieee_div_zero 0
		.amdhsa_exception_fp_ieee_overflow 0
		.amdhsa_exception_fp_ieee_underflow 0
		.amdhsa_exception_fp_ieee_inexact 0
		.amdhsa_exception_int_div_zero 0
	.end_amdhsa_kernel
	.section	.text._ZN4vllm4gptq33gemm_half_q_half_gptq_8bit_kernelILb1ELi3EEEvPK6__halfPKjS6_S4_PS2_iiiibPKi,"axG",@progbits,_ZN4vllm4gptq33gemm_half_q_half_gptq_8bit_kernelILb1ELi3EEEvPK6__halfPKjS6_S4_PS2_iiiibPKi,comdat
.Lfunc_end26:
	.size	_ZN4vllm4gptq33gemm_half_q_half_gptq_8bit_kernelILb1ELi3EEEvPK6__halfPKjS6_S4_PS2_iiiibPKi, .Lfunc_end26-_ZN4vllm4gptq33gemm_half_q_half_gptq_8bit_kernelILb1ELi3EEEvPK6__halfPKjS6_S4_PS2_iiiibPKi
                                        ; -- End function
	.set _ZN4vllm4gptq33gemm_half_q_half_gptq_8bit_kernelILb1ELi3EEEvPK6__halfPKjS6_S4_PS2_iiiibPKi.num_vgpr, 92
	.set _ZN4vllm4gptq33gemm_half_q_half_gptq_8bit_kernelILb1ELi3EEEvPK6__halfPKjS6_S4_PS2_iiiibPKi.num_agpr, 0
	.set _ZN4vllm4gptq33gemm_half_q_half_gptq_8bit_kernelILb1ELi3EEEvPK6__halfPKjS6_S4_PS2_iiiibPKi.numbered_sgpr, 27
	.set _ZN4vllm4gptq33gemm_half_q_half_gptq_8bit_kernelILb1ELi3EEEvPK6__halfPKjS6_S4_PS2_iiiibPKi.num_named_barrier, 0
	.set _ZN4vllm4gptq33gemm_half_q_half_gptq_8bit_kernelILb1ELi3EEEvPK6__halfPKjS6_S4_PS2_iiiibPKi.private_seg_size, 0
	.set _ZN4vllm4gptq33gemm_half_q_half_gptq_8bit_kernelILb1ELi3EEEvPK6__halfPKjS6_S4_PS2_iiiibPKi.uses_vcc, 1
	.set _ZN4vllm4gptq33gemm_half_q_half_gptq_8bit_kernelILb1ELi3EEEvPK6__halfPKjS6_S4_PS2_iiiibPKi.uses_flat_scratch, 0
	.set _ZN4vllm4gptq33gemm_half_q_half_gptq_8bit_kernelILb1ELi3EEEvPK6__halfPKjS6_S4_PS2_iiiibPKi.has_dyn_sized_stack, 0
	.set _ZN4vllm4gptq33gemm_half_q_half_gptq_8bit_kernelILb1ELi3EEEvPK6__halfPKjS6_S4_PS2_iiiibPKi.has_recursion, 0
	.set _ZN4vllm4gptq33gemm_half_q_half_gptq_8bit_kernelILb1ELi3EEEvPK6__halfPKjS6_S4_PS2_iiiibPKi.has_indirect_call, 0
	.section	.AMDGPU.csdata,"",@progbits
; Kernel info:
; codeLenInByte = 7988
; TotalNumSgprs: 33
; NumVgprs: 92
; NumAgprs: 0
; TotalNumVgprs: 92
; ScratchSize: 0
; MemoryBound: 0
; FloatMode: 240
; IeeeMode: 1
; LDSByteSize: 768 bytes/workgroup (compile time only)
; SGPRBlocks: 4
; VGPRBlocks: 11
; NumSGPRsForWavesPerEU: 33
; NumVGPRsForWavesPerEU: 92
; AccumOffset: 92
; Occupancy: 5
; WaveLimiterHint : 0
; COMPUTE_PGM_RSRC2:SCRATCH_EN: 0
; COMPUTE_PGM_RSRC2:USER_SGPR: 2
; COMPUTE_PGM_RSRC2:TRAP_HANDLER: 0
; COMPUTE_PGM_RSRC2:TGID_X_EN: 1
; COMPUTE_PGM_RSRC2:TGID_Y_EN: 1
; COMPUTE_PGM_RSRC2:TGID_Z_EN: 1
; COMPUTE_PGM_RSRC2:TIDIG_COMP_CNT: 0
; COMPUTE_PGM_RSRC3_GFX90A:ACCUM_OFFSET: 22
; COMPUTE_PGM_RSRC3_GFX90A:TG_SPLIT: 0
	.section	.text._ZN4vllm4gptq33gemm_half_q_half_gptq_2bit_kernelILb1ELi4EEEvPK6__halfPKjS6_S4_PS2_iiiibPKi,"axG",@progbits,_ZN4vllm4gptq33gemm_half_q_half_gptq_2bit_kernelILb1ELi4EEEvPK6__halfPKjS6_S4_PS2_iiiibPKi,comdat
	.protected	_ZN4vllm4gptq33gemm_half_q_half_gptq_2bit_kernelILb1ELi4EEEvPK6__halfPKjS6_S4_PS2_iiiibPKi ; -- Begin function _ZN4vllm4gptq33gemm_half_q_half_gptq_2bit_kernelILb1ELi4EEEvPK6__halfPKjS6_S4_PS2_iiiibPKi
	.globl	_ZN4vllm4gptq33gemm_half_q_half_gptq_2bit_kernelILb1ELi4EEEvPK6__halfPKjS6_S4_PS2_iiiibPKi
	.p2align	8
	.type	_ZN4vllm4gptq33gemm_half_q_half_gptq_2bit_kernelILb1ELi4EEEvPK6__halfPKjS6_S4_PS2_iiiibPKi,@function
_ZN4vllm4gptq33gemm_half_q_half_gptq_2bit_kernelILb1ELi4EEEvPK6__halfPKjS6_S4_PS2_iiiibPKi: ; @_ZN4vllm4gptq33gemm_half_q_half_gptq_2bit_kernelILb1ELi4EEEvPK6__halfPKjS6_S4_PS2_iiiibPKi
; %bb.0:
	s_load_dwordx8 s[8:15], s[0:1], 0x8
	s_load_dwordx4 s[16:19], s[0:1], 0x2c
	s_lshl_b32 s24, s4, 7
	s_add_i32 s4, s24, 0x80
	v_cvt_f64_u32_e32 v[2:3], s4
	s_lshl_b32 s3, s3, 2
	s_waitcnt lgkmcnt(0)
	v_cvt_f64_i32_e32 v[4:5], s17
	v_min_f64 v[2:3], v[2:3], v[4:5]
	v_cvt_i32_f64_e32 v1, v[2:3]
	v_add_u32_e32 v2, s24, v0
	v_readfirstlane_b32 s25, v1
	v_cmp_lt_u32_e32 vcc, v2, v1
	s_and_saveexec_b64 s[4:5], vcc
	s_cbranch_execz .LBB27_10
; %bb.1:
	s_load_dwordx2 s[22:23], s[0:1], 0x40
	s_load_dwordx2 s[6:7], s[0:1], 0x0
	v_mov_b32_e32 v3, 0
	v_mov_b64_e32 v[6:7], v[2:3]
	s_waitcnt lgkmcnt(0)
	s_cmp_lg_u64 s[22:23], 0
	s_cselect_b64 s[20:21], -1, 0
	s_cmp_eq_u64 s[22:23], 0
	v_lshl_add_u64 v[4:5], v[2:3], 2, s[22:23]
	s_cbranch_scc1 .LBB27_3
; %bb.2:
	global_load_dword v6, v[4:5], off
	s_waitcnt vmcnt(0)
	v_ashrrev_i32_e32 v7, 31, v6
.LBB27_3:
	s_mul_i32 s22, s3, s17
	s_ashr_i32 s23, s22, 31
	s_lshl_b64 s[0:1], s[22:23], 1
	s_add_u32 s0, s6, s0
	s_addc_u32 s1, s7, s1
	v_lshl_add_u64 v[6:7], v[6:7], 1, s[0:1]
	global_load_ushort v6, v[6:7], off
	v_lshlrev_b32_e32 v1, 1, v0
	v_cndmask_b32_e64 v7, 0, 1, s[20:21]
	v_cmp_ne_u32_e64 s[0:1], 1, v7
	s_andn2_b64 vcc, exec, s[20:21]
	s_waitcnt vmcnt(0)
	ds_write_b16 v1, v6
	v_mov_b64_e32 v[6:7], v[2:3]
	s_cbranch_vccnz .LBB27_5
; %bb.4:
	global_load_dword v6, v[4:5], off
	s_waitcnt vmcnt(0)
	v_ashrrev_i32_e32 v7, 31, v6
.LBB27_5:
	s_add_i32 s20, s22, s17
	s_ashr_i32 s21, s20, 31
	s_lshl_b64 s[22:23], s[20:21], 1
	s_add_u32 s22, s6, s22
	s_addc_u32 s23, s7, s23
	v_lshl_add_u64 v[6:7], v[6:7], 1, s[22:23]
	global_load_ushort v6, v[6:7], off
	s_and_b64 vcc, exec, s[0:1]
	s_waitcnt vmcnt(0)
	ds_write_b16 v1, v6 offset:256
	v_mov_b64_e32 v[6:7], v[2:3]
	s_cbranch_vccnz .LBB27_7
; %bb.6:
	global_load_dword v6, v[4:5], off
	s_waitcnt vmcnt(0)
	v_ashrrev_i32_e32 v7, 31, v6
.LBB27_7:
	s_add_i32 s20, s20, s17
	s_ashr_i32 s21, s20, 31
	s_lshl_b64 s[22:23], s[20:21], 1
	s_add_u32 s22, s6, s22
	s_addc_u32 s23, s7, s23
	v_lshl_add_u64 v[6:7], v[6:7], 1, s[22:23]
	global_load_ushort v6, v[6:7], off
	s_and_b64 vcc, exec, s[0:1]
	s_waitcnt vmcnt(0)
	ds_write_b16 v1, v6 offset:512
	s_cbranch_vccnz .LBB27_9
; %bb.8:
	global_load_dword v2, v[4:5], off
	s_waitcnt vmcnt(0)
	v_ashrrev_i32_e32 v3, 31, v2
.LBB27_9:
	s_add_i32 s0, s20, s17
	s_ashr_i32 s1, s0, 31
	s_lshl_b64 s[0:1], s[0:1], 1
	s_add_u32 s0, s6, s0
	s_addc_u32 s1, s7, s1
	v_lshl_add_u64 v[2:3], v[2:3], 1, s[0:1]
	global_load_ushort v2, v[2:3], off
	s_waitcnt vmcnt(0)
	ds_write_b16 v1, v2 offset:768
.LBB27_10:
	s_or_b64 exec, exec, s[4:5]
	v_lshlrev_b32_e32 v1, 2, v0
	v_lshl_add_u32 v4, s2, 9, v1
	v_cmp_gt_i32_e32 vcc, s16, v4
	s_and_saveexec_b64 s[0:1], vcc
	s_cbranch_execz .LBB27_32
; %bb.11:
	s_abs_i32 s0, s18
	v_cvt_f32_u32_e32 v1, s0
	s_mov_b32 s2, 0
	v_mov_b32_e32 v18, 0
	v_mov_b32_e32 v17, 0
	v_rcp_iflag_f32_e32 v1, v1
	v_mov_b32_e32 v15, 0
	v_mov_b32_e32 v14, 0
	s_cmp_ge_i32 s24, s25
	v_mul_f32_e32 v1, 0x4f7ffffe, v1
	v_cvt_u32_f32_e32 v1, v1
	v_mov_b32_e32 v13, 0
	v_mov_b32_e32 v12, 0
	;; [unrolled: 1-line block ×3, first 2 shown]
	v_readfirstlane_b32 s1, v1
	v_mov_b32_e32 v10, 0
	s_waitcnt lgkmcnt(0)
	s_barrier
	s_cbranch_scc1 .LBB27_16
; %bb.12:
	s_sub_i32 s7, 0, s0
	s_mul_i32 s7, s7, s1
	s_mul_hi_u32 s7, s1, s7
	s_abs_i32 s6, s17
	s_add_i32 s1, s1, s7
	s_ashr_i32 s4, s17, 31
	s_ashr_i32 s5, s18, 31
	s_mul_hi_u32 s1, s6, s1
	s_xor_b32 s4, s4, s5
	s_mul_i32 s5, s1, s0
	s_sub_i32 s5, s6, s5
	s_add_i32 s6, s1, 1
	s_sub_i32 s7, s5, s0
	s_cmp_ge_u32 s5, s0
	s_cselect_b32 s1, s6, s1
	s_cselect_b32 s5, s7, s5
	s_add_i32 s6, s1, 1
	s_cmp_ge_u32 s5, s0
	s_cselect_b32 s0, s6, s1
	s_xor_b32 s0, s0, s4
	s_sub_i32 s4, s0, s4
	v_cvt_f32_u32_e32 v1, s4
	s_bitcmp1_b32 s19, 0
	s_cselect_b64 s[0:1], -1, 0
	s_sub_i32 s5, 0, s4
	v_rcp_iflag_f32_e32 v1, v1
	s_xor_b64 s[0:1], s[0:1], -1
	v_ashrrev_i32_e32 v5, 31, v4
	v_lshrrev_b32_e32 v2, 28, v5
	v_mul_f32_e32 v1, 0x4f7ffffe, v1
	v_cvt_u32_f32_e32 v1, v1
	v_add_u32_e32 v2, v4, v2
	v_ashrrev_i32_e32 v16, 4, v2
	v_cndmask_b32_e64 v21, 0, 1, s[0:1]
	v_readfirstlane_b32 s6, v1
	s_mul_i32 s5, s5, s6
	s_mul_hi_u32 s5, s6, s5
	s_add_i32 s6, s6, s5
	s_mul_hi_u32 s5, s24, s6
	s_mul_i32 s6, s5, s4
	s_sub_i32 s6, s24, s6
	s_add_i32 s7, s5, 1
	s_sub_i32 s17, s6, s4
	s_cmp_ge_u32 s6, s4
	s_cselect_b32 s5, s7, s5
	s_cselect_b32 s6, s17, s6
	s_add_i32 s7, s5, 1
	s_cmp_ge_u32 s6, s4
	s_cselect_b32 s5, s7, s5
	s_mul_i32 s6, s5, s16
	s_ashr_i32 s7, s6, 31
	s_lshr_b32 s7, s7, 28
	s_add_i32 s7, s6, s7
	s_ashr_i32 s7, s7, 4
	v_add_u32_e32 v2, s7, v16
	v_ashrrev_i32_e32 v3, 31, v2
	v_lshl_add_u64 v[2:3], v[2:3], 2, s[10:11]
	global_load_dword v18, v[2:3], off
	v_add_u32_e32 v2, s6, v4
	v_ashrrev_i32_e32 v3, 31, v2
	v_lshl_add_u64 v[2:3], v[2:3], 1, s[12:13]
	global_load_dwordx2 v[6:7], v[2:3], off
	s_lshr_b32 s0, s24, 4
	s_mul_i32 s0, s16, s0
	s_ashr_i32 s1, s0, 31
	s_add_i32 s21, s4, s24
	s_ashr_i32 s17, s16, 31
	s_lshl_b64 s[0:1], s[0:1], 2
	s_add_u32 s8, s8, s0
	s_addc_u32 s9, s9, s1
	v_lshlrev_b32_e32 v2, 3, v0
	v_lshl_add_u64 v[0:1], v[4:5], 2, s[8:9]
	v_and_b32_e32 v20, 24, v2
	v_lshl_add_u64 v[8:9], v[0:1], 0, 8
	v_mov_b32_e32 v10, 0
	s_mov_b32 s6, 0x10001
	v_mov_b32_e32 v19, 0xe400e400
	s_movk_i32 s7, 0x3400
	s_movk_i32 s18, 0x2c00
	;; [unrolled: 1-line block ×3, first 2 shown]
	s_mov_b32 s20, 0x7060302
	v_mov_b32_e32 v11, 0
	v_mov_b32_e32 v12, 0
	;; [unrolled: 1-line block ×6, first 2 shown]
	s_lshl_b64 s[0:1], s[16:17], 2
	s_waitcnt vmcnt(1)
	v_lshrrev_b32_e32 v0, v2, v18
	v_bfe_u32 v5, v18, v20, 2
	v_bfe_u32 v22, v0, 2, 2
	;; [unrolled: 1-line block ×4, first 2 shown]
	v_mov_b32_e32 v18, 0
	s_branch .LBB27_14
.LBB27_13:                              ;   in Loop: Header=BB27_14 Depth=1
	global_load_dwordx4 v[0:3], v[8:9], off offset:-8
	v_add_u32_e32 v26, v5, v21
	v_add_u32_e32 v27, v22, v21
	;; [unrolled: 1-line block ×3, first 2 shown]
	v_cvt_f32_i32_e32 v30, v26
	v_cvt_f32_i32_e32 v31, v27
	v_add_u32_e32 v29, v24, v21
	v_cvt_f32_i32_e32 v34, v28
	v_cvt_f32_i32_e32 v35, v29
	v_and_b32_e32 v26, 0x1bff, v26
	v_and_b32_e32 v27, 0x1bff, v27
	v_mad_u32_u24 v44, v26, s6, v19
	v_mad_u32_u24 v46, v27, s6, v19
	v_cvt_f16_f32_e32 v26, v30
	v_cvt_f16_f32_e32 v27, v31
	;; [unrolled: 1-line block ×4, first 2 shown]
	v_mov_b32_e32 v25, s2
	v_and_b32_e32 v28, 0x1bff, v28
	v_and_b32_e32 v29, 0x1bff, v29
	ds_read2_b32 v[32:33], v25 offset1:1
	ds_read2_b32 v[42:43], v25 offset0:2 offset1:3
	v_mad_u32_u24 v45, v28, s6, v19
	v_mad_u32_u24 v47, v29, s6, v19
	v_sub_f16_e32 v28, 0xdc00, v26
	v_sub_f16_e32 v29, 0xdc00, v27
	;; [unrolled: 1-line block ×7, first 2 shown]
	v_mul_u32_u24_e32 v50, 0x10001, v28
	v_mul_u32_u24_e32 v51, 0x10001, v29
	v_sub_f16_e32 v31, 0xdc00, v35
	v_mul_u32_u24_e32 v48, 0x10001, v30
	v_mul_u32_u24_e32 v53, 0x10001, v31
	;; [unrolled: 1-line block ×6, first 2 shown]
	s_add_i32 s24, s24, 16
	s_add_i32 s2, s2, 32
	s_cmp_ge_i32 s24, s25
	v_lshl_add_u64 v[8:9], v[8:9], 0, s[0:1]
	s_waitcnt vmcnt(0)
	v_and_b32_e32 v26, 0x30003, v0
	v_and_b32_e32 v27, 0xc000c, v0
	v_and_b32_e32 v52, 0x300030, v0
	v_and_b32_e32 v59, 0xc000c0, v0
	v_lshrrev_b32_e32 v49, 8, v0
	v_and_b32_e32 v0, 0x30003, v1
	v_and_b32_e32 v28, 0xc000c, v1
	v_and_b32_e32 v61, 0x300030, v1
	v_and_b32_e32 v62, 0xc000c0, v1
	v_lshrrev_b32_e32 v54, 8, v1
	;; [unrolled: 5-line block ×4, first 2 shown]
	v_or_b32_e32 v3, 0x64006400, v26
	v_or_b32_e32 v26, 0x64006400, v27
	;; [unrolled: 1-line block ×8, first 2 shown]
	v_pk_add_f16 v38, v44, v3
	v_pk_fma_f16 v39, v26, s7, v50 op_sel_hi:[1,0,1]
	v_pk_add_f16 v30, v46, v0
	v_pk_add_f16 v28, v45, v1
	;; [unrolled: 1-line block ×3, first 2 shown]
	v_pk_fma_f16 v31, v27, s7, v51 op_sel_hi:[1,0,1]
	v_pk_fma_f16 v29, v29, s7, v48 op_sel_hi:[1,0,1]
	;; [unrolled: 1-line block ×3, first 2 shown]
	s_waitcnt lgkmcnt(1)
	v_pk_fma_f16 v0, v38, v32, 0
	v_pk_fma_f16 v1, v30, v32, 0
	;; [unrolled: 1-line block ×4, first 2 shown]
	v_sub_f16_e32 v32, 0xd400, v34
	v_pk_fma_f16 v0, v39, v33, v0
	v_pk_fma_f16 v1, v31, v33, v1
	;; [unrolled: 1-line block ×4, first 2 shown]
	v_sub_f16_e32 v33, 0xcc00, v34
	v_mul_u32_u24_e32 v71, 0x10001, v32
	v_sub_f16_e32 v32, 0xd400, v35
	v_mul_u32_u24_e32 v60, 0x10001, v33
	;; [unrolled: 2-line block ×3, first 2 shown]
	v_or_b32_e32 v32, 0x64006400, v52
	v_mul_u32_u24_e32 v57, 0x10001, v33
	v_or_b32_e32 v33, 0x64006400, v59
	v_pk_fma_f16 v40, v32, s18, v67 op_sel_hi:[1,0,1]
	v_or_b32_e32 v32, 0x64006400, v61
	v_pk_fma_f16 v41, v33, s19, v68 op_sel_hi:[1,0,1]
	;; [unrolled: 2-line block ×3, first 2 shown]
	v_or_b32_e32 v32, 0x64006400, v63
	s_waitcnt lgkmcnt(0)
	v_pk_fma_f16 v0, v40, v42, v0
	v_pk_fma_f16 v37, v33, s19, v70 op_sel_hi:[1,0,1]
	v_or_b32_e32 v33, 0x64006400, v64
	v_pk_fma_f16 v34, v32, s18, v71 op_sel_hi:[1,0,1]
	v_or_b32_e32 v32, 0x64006400, v65
	v_pk_fma_f16 v63, v41, v43, v0
	v_pk_fma_f16 v0, v36, v42, v1
	v_pk_fma_f16 v35, v33, s19, v60 op_sel_hi:[1,0,1]
	v_or_b32_e32 v33, 0x64006400, v66
	v_pk_fma_f16 v32, v32, s18, v58 op_sel_hi:[1,0,1]
	v_pk_fma_f16 v62, v37, v43, v0
	v_pk_fma_f16 v0, v34, v42, v2
	v_pk_fma_f16 v33, v33, s19, v57 op_sel_hi:[1,0,1]
	v_pk_fma_f16 v61, v35, v43, v0
	v_pk_fma_f16 v0, v32, v42, v3
	v_and_b32_e32 v2, 0xc000c0, v49
	v_pk_fma_f16 v59, v33, v43, v0
	v_and_b32_e32 v0, 0x30003, v49
	v_or_b32_e32 v0, 0x64006400, v0
	v_pk_add_f16 v43, v44, v0
	v_and_b32_e32 v0, 0xc000c, v49
	v_or_b32_e32 v0, 0x64006400, v0
	v_or_b32_e32 v2, 0x64006400, v2
	v_pk_fma_f16 v44, v0, s7, v50 op_sel_hi:[1,0,1]
	v_pk_fma_f16 v50, v2, s19, v68 op_sel_hi:[1,0,1]
	v_and_b32_e32 v2, 0x30003, v54
	v_or_b32_e32 v2, 0x64006400, v2
	v_and_b32_e32 v0, 0x300030, v49
	v_pk_add_f16 v49, v46, v2
	v_and_b32_e32 v2, 0xc000c, v54
	v_or_b32_e32 v2, 0x64006400, v2
	v_pk_fma_f16 v51, v2, s7, v51 op_sel_hi:[1,0,1]
	v_and_b32_e32 v2, 0x300030, v54
	v_or_b32_e32 v2, 0x64006400, v2
	v_pk_fma_f16 v52, v2, s18, v69 op_sel_hi:[1,0,1]
	;; [unrolled: 3-line block ×3, first 2 shown]
	v_and_b32_e32 v2, 0x30003, v56
	v_or_b32_e32 v2, 0x64006400, v2
	v_pk_add_f16 v45, v45, v2
	v_and_b32_e32 v2, 0xc000c, v56
	v_or_b32_e32 v2, 0x64006400, v2
	v_pk_fma_f16 v46, v2, s7, v48 op_sel_hi:[1,0,1]
	v_and_b32_e32 v2, 0x300030, v56
	v_and_b32_e32 v56, 0xc000c0, v56
	v_or_b32_e32 v56, 0x64006400, v56
	v_or_b32_e32 v0, 0x64006400, v0
	v_pk_fma_f16 v56, v56, s19, v60 op_sel_hi:[1,0,1]
	v_and_b32_e32 v60, 0x30003, v55
	v_pk_fma_f16 v42, v0, s18, v67 op_sel_hi:[1,0,1]
	ds_read2_b32 v[0:1], v25 offset0:4 offset1:5
	ds_read2_b32 v[64:65], v25 offset0:64 offset1:65
	v_or_b32_e32 v60, 0x64006400, v60
	v_or_b32_e32 v2, 0x64006400, v2
	v_pk_add_f16 v47, v47, v60
	v_and_b32_e32 v60, 0xc000c, v55
	v_pk_fma_f16 v48, v2, s18, v71 op_sel_hi:[1,0,1]
	ds_read2_b32 v[2:3], v25 offset0:6 offset1:7
	v_or_b32_e32 v60, 0x64006400, v60
	v_pk_fma_f16 v53, v60, s7, v53 op_sel_hi:[1,0,1]
	v_and_b32_e32 v60, 0x300030, v55
	v_and_b32_e32 v55, 0xc000c0, v55
	v_or_b32_e32 v55, 0x64006400, v55
	v_pk_fma_f16 v55, v55, s19, v57 op_sel_hi:[1,0,1]
	s_waitcnt lgkmcnt(2)
	v_pk_fma_f16 v57, v43, v0, v63
	v_or_b32_e32 v60, 0x64006400, v60
	v_pk_fma_f16 v57, v44, v1, v57
	v_pk_fma_f16 v58, v60, s18, v58 op_sel_hi:[1,0,1]
	s_waitcnt lgkmcnt(0)
	v_pk_fma_f16 v57, v42, v2, v57
	s_nop 0
	v_pk_fma_f16 v60, v50, v3, v57
	v_pk_fma_f16 v57, v49, v0, v62
	s_nop 0
	v_pk_fma_f16 v57, v51, v1, v57
	s_nop 0
	;; [unrolled: 2-line block ×3, first 2 shown]
	v_pk_fma_f16 v62, v54, v3, v57
	v_pk_fma_f16 v57, v45, v0, v61
	;; [unrolled: 1-line block ×16, first 2 shown]
	ds_read2_b32 v[2:3], v25 offset0:66 offset1:67
	v_pk_fma_f16 v1, v39, v65, v1
	s_waitcnt lgkmcnt(0)
	v_pk_fma_f16 v59, v36, v2, v59
	v_pk_fma_f16 v1, v40, v2, v1
	v_pk_fma_f16 v61, v34, v2, v61
	v_pk_fma_f16 v2, v32, v2, v63
	v_pk_fma_f16 v1, v41, v3, v1
	v_pk_fma_f16 v59, v37, v3, v59
	v_pk_fma_f16 v61, v35, v3, v61
	v_pk_fma_f16 v63, v33, v3, v2
	ds_read2_b32 v[2:3], v25 offset0:68 offset1:69
	s_waitcnt lgkmcnt(0)
	v_pk_fma_f16 v1, v43, v2, v1
	v_pk_fma_f16 v59, v49, v2, v59
	v_pk_fma_f16 v61, v45, v2, v61
	v_pk_fma_f16 v2, v47, v2, v63
	v_pk_fma_f16 v1, v44, v3, v1
	v_pk_fma_f16 v59, v51, v3, v59
	v_pk_fma_f16 v61, v46, v3, v61
	v_pk_fma_f16 v63, v53, v3, v2
	ds_read2_b32 v[2:3], v25 offset0:70 offset1:71
	;; [unrolled: 10-line block ×6, first 2 shown]
	s_waitcnt lgkmcnt(0)
	v_pk_fma_f16 v64, v42, v2, v64
	s_nop 0
	v_pk_fma_f16 v68, v50, v3, v64
	v_pk_fma_f16 v64, v52, v2, v65
	s_nop 0
	v_pk_fma_f16 v69, v54, v3, v64
	v_pk_fma_f16 v64, v48, v2, v66
	;; [unrolled: 1-line block ×5, first 2 shown]
	ds_read2_b32 v[2:3], v25 offset0:192 offset1:193
	s_waitcnt lgkmcnt(0)
	v_pk_fma_f16 v38, v38, v2, 0
	s_nop 0
	v_pk_fma_f16 v64, v39, v3, v38
	ds_read2_b32 v[38:39], v25 offset0:194 offset1:195
	v_pk_fma_f16 v30, v30, v2, 0
	s_waitcnt lgkmcnt(0)
	v_pk_fma_f16 v40, v40, v38, v64
	s_nop 0
	v_pk_fma_f16 v64, v41, v39, v40
	ds_read2_b32 v[40:41], v25 offset0:196 offset1:197
	v_pk_fma_f16 v30, v31, v3, v30
	v_pack_b32_f16 v31, v60, v62
	v_pk_fma_f16 v30, v36, v38, v30
	v_perm_b32 v36, v62, v60, s20
	s_waitcnt lgkmcnt(0)
	v_pk_fma_f16 v43, v43, v40, v64
	ds_read2_b32 v[64:65], v25 offset0:198 offset1:199
	v_pk_fma_f16 v30, v37, v39, v30
	v_pk_add_f16 v31, v31, v36
	v_pk_fma_f16 v30, v49, v40, v30
	v_pk_fma_f16 v18, v31, v6, v18
	v_pack_b32_f16 v31, v1, v59
	v_perm_b32 v1, v59, v1, s20
	v_pk_fma_f16 v43, v44, v41, v43
	v_pk_fma_f16 v30, v51, v41, v30
	v_pk_add_f16 v1, v31, v1
	s_waitcnt lgkmcnt(0)
	v_pk_fma_f16 v25, v42, v64, v43
	v_pk_fma_f16 v30, v52, v64, v30
	;; [unrolled: 1-line block ×3, first 2 shown]
	v_pack_b32_f16 v1, v68, v69
	v_perm_b32 v31, v69, v68, s20
	v_pk_fma_f16 v25, v50, v65, v25
	v_pk_fma_f16 v30, v54, v65, v30
	v_pk_add_f16 v1, v1, v31
	s_nop 0
	v_pk_fma_f16 v13, v1, v6, v13
	v_pack_b32_f16 v1, v25, v30
	v_perm_b32 v25, v30, v25, s20
	v_pk_add_f16 v1, v1, v25
	s_nop 0
	v_pk_fma_f16 v11, v1, v6, v11
	v_pk_fma_f16 v1, v28, v2, 0
	;; [unrolled: 1-line block ×7, first 2 shown]
	v_pack_b32_f16 v3, v57, v0
	v_perm_b32 v0, v0, v57, s20
	v_pk_fma_f16 v1, v35, v39, v1
	v_pk_fma_f16 v2, v33, v39, v2
	v_pk_add_f16 v0, v3, v0
	v_pk_fma_f16 v1, v45, v40, v1
	v_pk_fma_f16 v2, v47, v40, v2
	;; [unrolled: 1-line block ×3, first 2 shown]
	v_pack_b32_f16 v0, v61, v63
	v_perm_b32 v3, v63, v61, s20
	v_pk_fma_f16 v1, v46, v41, v1
	v_pk_fma_f16 v2, v53, v41, v2
	v_pk_add_f16 v0, v0, v3
	v_pk_fma_f16 v1, v48, v64, v1
	v_pk_fma_f16 v2, v58, v64, v2
	;; [unrolled: 1-line block ×3, first 2 shown]
	v_pack_b32_f16 v0, v66, v67
	v_perm_b32 v3, v67, v66, s20
	v_pk_fma_f16 v1, v56, v65, v1
	v_pk_fma_f16 v2, v55, v65, v2
	v_pk_add_f16 v0, v0, v3
	s_nop 0
	v_pk_fma_f16 v12, v0, v7, v12
	v_pack_b32_f16 v0, v1, v2
	v_perm_b32 v1, v2, v1, s20
	v_pk_add_f16 v0, v0, v1
	s_nop 0
	v_pk_fma_f16 v10, v0, v7, v10
	s_cbranch_scc1 .LBB27_16
.LBB27_14:                              ; =>This Inner Loop Header: Depth=1
	s_cmp_lg_u32 s24, s21
	s_cbranch_scc1 .LBB27_13
; %bb.15:                               ;   in Loop: Header=BB27_14 Depth=1
	s_add_i32 s5, s5, 1
	s_mul_i32 s8, s5, s16
	s_ashr_i32 s9, s8, 31
	s_lshr_b32 s9, s9, 28
	s_add_i32 s9, s8, s9
	s_ashr_i32 s9, s9, 4
	v_add_u32_e32 v0, s9, v16
	v_ashrrev_i32_e32 v1, 31, v0
	v_lshl_add_u64 v[0:1], v[0:1], 2, s[10:11]
	global_load_dword v2, v[0:1], off
	v_add_u32_e32 v0, s8, v4
	v_ashrrev_i32_e32 v1, 31, v0
	v_lshl_add_u64 v[0:1], v[0:1], 1, s[12:13]
	global_load_dwordx2 v[6:7], v[0:1], off
	s_add_i32 s21, s21, s4
	s_waitcnt vmcnt(1)
	v_lshrrev_b32_e32 v0, v20, v2
	v_bfe_u32 v5, v2, v20, 2
	v_bfe_u32 v22, v0, 2, 2
	;; [unrolled: 1-line block ×4, first 2 shown]
	s_branch .LBB27_13
.LBB27_16:
	s_mul_i32 s3, s3, s16
	v_add_u32_e32 v0, s3, v4
	v_ashrrev_i32_e32 v1, 31, v0
	v_lshl_add_u64 v[2:3], v[0:1], 1, s[14:15]
	global_load_dword v5, v[2:3], off
	s_mov_b64 s[0:1], 0
.LBB27_17:                              ; =>This Inner Loop Header: Depth=1
	s_waitcnt vmcnt(0)
	v_pk_add_f16 v4, v18, v5
	global_atomic_cmpswap v1, v[2:3], v[4:5], off sc0
	s_waitcnt vmcnt(0)
	v_cmp_eq_u32_e32 vcc, v5, v1
	s_or_b64 s[0:1], vcc, s[0:1]
	v_mov_b32_e32 v5, v1
	s_andn2_b64 exec, exec, s[0:1]
	s_cbranch_execnz .LBB27_17
; %bb.18:
	s_or_b64 exec, exec, s[0:1]
	global_load_dword v5, v[2:3], off offset:4
	s_mov_b64 s[0:1], 0
.LBB27_19:                              ; =>This Inner Loop Header: Depth=1
	s_waitcnt vmcnt(0)
	v_pk_add_f16 v4, v17, v5
	global_atomic_cmpswap v1, v[2:3], v[4:5], off offset:4 sc0
	s_waitcnt vmcnt(0)
	v_cmp_eq_u32_e32 vcc, v5, v1
	s_or_b64 s[0:1], vcc, s[0:1]
	v_mov_b32_e32 v5, v1
	s_andn2_b64 exec, exec, s[0:1]
	s_cbranch_execnz .LBB27_19
; %bb.20:
	s_or_b64 exec, exec, s[0:1]
	v_add_u32_e32 v0, s16, v0
	v_ashrrev_i32_e32 v1, 31, v0
	v_lshl_add_u64 v[2:3], v[0:1], 1, s[14:15]
	global_load_dword v5, v[2:3], off
	s_mov_b64 s[0:1], 0
.LBB27_21:                              ; =>This Inner Loop Header: Depth=1
	s_waitcnt vmcnt(0)
	v_pk_add_f16 v4, v15, v5
	global_atomic_cmpswap v1, v[2:3], v[4:5], off sc0
	s_waitcnt vmcnt(0)
	v_cmp_eq_u32_e32 vcc, v5, v1
	s_or_b64 s[0:1], vcc, s[0:1]
	v_mov_b32_e32 v5, v1
	s_andn2_b64 exec, exec, s[0:1]
	s_cbranch_execnz .LBB27_21
; %bb.22:
	s_or_b64 exec, exec, s[0:1]
	global_load_dword v5, v[2:3], off offset:4
	s_mov_b64 s[0:1], 0
.LBB27_23:                              ; =>This Inner Loop Header: Depth=1
	s_waitcnt vmcnt(0)
	v_pk_add_f16 v4, v14, v5
	global_atomic_cmpswap v1, v[2:3], v[4:5], off offset:4 sc0
	s_waitcnt vmcnt(0)
	v_cmp_eq_u32_e32 vcc, v5, v1
	s_or_b64 s[0:1], vcc, s[0:1]
	v_mov_b32_e32 v5, v1
	s_andn2_b64 exec, exec, s[0:1]
	s_cbranch_execnz .LBB27_23
; %bb.24:
	s_or_b64 exec, exec, s[0:1]
	;; [unrolled: 31-line block ×3, first 2 shown]
	v_add_u32_e32 v0, s16, v0
	v_ashrrev_i32_e32 v1, 31, v0
	v_lshl_add_u64 v[0:1], v[0:1], 1, s[14:15]
	global_load_dword v3, v[0:1], off
	s_mov_b64 s[0:1], 0
.LBB27_29:                              ; =>This Inner Loop Header: Depth=1
	s_waitcnt vmcnt(0)
	v_pk_add_f16 v2, v11, v3
	global_atomic_cmpswap v2, v[0:1], v[2:3], off sc0
	s_waitcnt vmcnt(0)
	v_cmp_eq_u32_e32 vcc, v3, v2
	s_or_b64 s[0:1], vcc, s[0:1]
	v_mov_b32_e32 v3, v2
	s_andn2_b64 exec, exec, s[0:1]
	s_cbranch_execnz .LBB27_29
; %bb.30:
	s_or_b64 exec, exec, s[0:1]
	global_load_dword v3, v[0:1], off offset:4
	s_mov_b64 s[0:1], 0
.LBB27_31:                              ; =>This Inner Loop Header: Depth=1
	s_waitcnt vmcnt(0)
	v_pk_add_f16 v2, v10, v3
	global_atomic_cmpswap v2, v[0:1], v[2:3], off offset:4 sc0
	s_waitcnt vmcnt(0)
	v_cmp_eq_u32_e32 vcc, v3, v2
	s_or_b64 s[0:1], vcc, s[0:1]
	v_mov_b32_e32 v3, v2
	s_andn2_b64 exec, exec, s[0:1]
	s_cbranch_execnz .LBB27_31
.LBB27_32:
	s_endpgm
	.section	.rodata,"a",@progbits
	.p2align	6, 0x0
	.amdhsa_kernel _ZN4vllm4gptq33gemm_half_q_half_gptq_2bit_kernelILb1ELi4EEEvPK6__halfPKjS6_S4_PS2_iiiibPKi
		.amdhsa_group_segment_fixed_size 1024
		.amdhsa_private_segment_fixed_size 0
		.amdhsa_kernarg_size 72
		.amdhsa_user_sgpr_count 2
		.amdhsa_user_sgpr_dispatch_ptr 0
		.amdhsa_user_sgpr_queue_ptr 0
		.amdhsa_user_sgpr_kernarg_segment_ptr 1
		.amdhsa_user_sgpr_dispatch_id 0
		.amdhsa_user_sgpr_kernarg_preload_length 0
		.amdhsa_user_sgpr_kernarg_preload_offset 0
		.amdhsa_user_sgpr_private_segment_size 0
		.amdhsa_uses_dynamic_stack 0
		.amdhsa_enable_private_segment 0
		.amdhsa_system_sgpr_workgroup_id_x 1
		.amdhsa_system_sgpr_workgroup_id_y 1
		.amdhsa_system_sgpr_workgroup_id_z 1
		.amdhsa_system_sgpr_workgroup_info 0
		.amdhsa_system_vgpr_workitem_id 0
		.amdhsa_next_free_vgpr 72
		.amdhsa_next_free_sgpr 26
		.amdhsa_accum_offset 72
		.amdhsa_reserve_vcc 1
		.amdhsa_float_round_mode_32 0
		.amdhsa_float_round_mode_16_64 0
		.amdhsa_float_denorm_mode_32 3
		.amdhsa_float_denorm_mode_16_64 3
		.amdhsa_dx10_clamp 1
		.amdhsa_ieee_mode 1
		.amdhsa_fp16_overflow 0
		.amdhsa_tg_split 0
		.amdhsa_exception_fp_ieee_invalid_op 0
		.amdhsa_exception_fp_denorm_src 0
		.amdhsa_exception_fp_ieee_div_zero 0
		.amdhsa_exception_fp_ieee_overflow 0
		.amdhsa_exception_fp_ieee_underflow 0
		.amdhsa_exception_fp_ieee_inexact 0
		.amdhsa_exception_int_div_zero 0
	.end_amdhsa_kernel
	.section	.text._ZN4vllm4gptq33gemm_half_q_half_gptq_2bit_kernelILb1ELi4EEEvPK6__halfPKjS6_S4_PS2_iiiibPKi,"axG",@progbits,_ZN4vllm4gptq33gemm_half_q_half_gptq_2bit_kernelILb1ELi4EEEvPK6__halfPKjS6_S4_PS2_iiiibPKi,comdat
.Lfunc_end27:
	.size	_ZN4vllm4gptq33gemm_half_q_half_gptq_2bit_kernelILb1ELi4EEEvPK6__halfPKjS6_S4_PS2_iiiibPKi, .Lfunc_end27-_ZN4vllm4gptq33gemm_half_q_half_gptq_2bit_kernelILb1ELi4EEEvPK6__halfPKjS6_S4_PS2_iiiibPKi
                                        ; -- End function
	.set _ZN4vllm4gptq33gemm_half_q_half_gptq_2bit_kernelILb1ELi4EEEvPK6__halfPKjS6_S4_PS2_iiiibPKi.num_vgpr, 72
	.set _ZN4vllm4gptq33gemm_half_q_half_gptq_2bit_kernelILb1ELi4EEEvPK6__halfPKjS6_S4_PS2_iiiibPKi.num_agpr, 0
	.set _ZN4vllm4gptq33gemm_half_q_half_gptq_2bit_kernelILb1ELi4EEEvPK6__halfPKjS6_S4_PS2_iiiibPKi.numbered_sgpr, 26
	.set _ZN4vllm4gptq33gemm_half_q_half_gptq_2bit_kernelILb1ELi4EEEvPK6__halfPKjS6_S4_PS2_iiiibPKi.num_named_barrier, 0
	.set _ZN4vllm4gptq33gemm_half_q_half_gptq_2bit_kernelILb1ELi4EEEvPK6__halfPKjS6_S4_PS2_iiiibPKi.private_seg_size, 0
	.set _ZN4vllm4gptq33gemm_half_q_half_gptq_2bit_kernelILb1ELi4EEEvPK6__halfPKjS6_S4_PS2_iiiibPKi.uses_vcc, 1
	.set _ZN4vllm4gptq33gemm_half_q_half_gptq_2bit_kernelILb1ELi4EEEvPK6__halfPKjS6_S4_PS2_iiiibPKi.uses_flat_scratch, 0
	.set _ZN4vllm4gptq33gemm_half_q_half_gptq_2bit_kernelILb1ELi4EEEvPK6__halfPKjS6_S4_PS2_iiiibPKi.has_dyn_sized_stack, 0
	.set _ZN4vllm4gptq33gemm_half_q_half_gptq_2bit_kernelILb1ELi4EEEvPK6__halfPKjS6_S4_PS2_iiiibPKi.has_recursion, 0
	.set _ZN4vllm4gptq33gemm_half_q_half_gptq_2bit_kernelILb1ELi4EEEvPK6__halfPKjS6_S4_PS2_iiiibPKi.has_indirect_call, 0
	.section	.AMDGPU.csdata,"",@progbits
; Kernel info:
; codeLenInByte = 4308
; TotalNumSgprs: 32
; NumVgprs: 72
; NumAgprs: 0
; TotalNumVgprs: 72
; ScratchSize: 0
; MemoryBound: 0
; FloatMode: 240
; IeeeMode: 1
; LDSByteSize: 1024 bytes/workgroup (compile time only)
; SGPRBlocks: 3
; VGPRBlocks: 8
; NumSGPRsForWavesPerEU: 32
; NumVGPRsForWavesPerEU: 72
; AccumOffset: 72
; Occupancy: 7
; WaveLimiterHint : 0
; COMPUTE_PGM_RSRC2:SCRATCH_EN: 0
; COMPUTE_PGM_RSRC2:USER_SGPR: 2
; COMPUTE_PGM_RSRC2:TRAP_HANDLER: 0
; COMPUTE_PGM_RSRC2:TGID_X_EN: 1
; COMPUTE_PGM_RSRC2:TGID_Y_EN: 1
; COMPUTE_PGM_RSRC2:TGID_Z_EN: 1
; COMPUTE_PGM_RSRC2:TIDIG_COMP_CNT: 0
; COMPUTE_PGM_RSRC3_GFX90A:ACCUM_OFFSET: 17
; COMPUTE_PGM_RSRC3_GFX90A:TG_SPLIT: 0
	.section	.text._ZN4vllm4gptq33gemm_half_q_half_gptq_3bit_kernelILb1ELi4EEEvPK6__halfPKjS6_S4_PS2_iiiibPKi,"axG",@progbits,_ZN4vllm4gptq33gemm_half_q_half_gptq_3bit_kernelILb1ELi4EEEvPK6__halfPKjS6_S4_PS2_iiiibPKi,comdat
	.protected	_ZN4vllm4gptq33gemm_half_q_half_gptq_3bit_kernelILb1ELi4EEEvPK6__halfPKjS6_S4_PS2_iiiibPKi ; -- Begin function _ZN4vllm4gptq33gemm_half_q_half_gptq_3bit_kernelILb1ELi4EEEvPK6__halfPKjS6_S4_PS2_iiiibPKi
	.globl	_ZN4vllm4gptq33gemm_half_q_half_gptq_3bit_kernelILb1ELi4EEEvPK6__halfPKjS6_S4_PS2_iiiibPKi
	.p2align	8
	.type	_ZN4vllm4gptq33gemm_half_q_half_gptq_3bit_kernelILb1ELi4EEEvPK6__halfPKjS6_S4_PS2_iiiibPKi,@function
_ZN4vllm4gptq33gemm_half_q_half_gptq_3bit_kernelILb1ELi4EEEvPK6__halfPKjS6_S4_PS2_iiiibPKi: ; @_ZN4vllm4gptq33gemm_half_q_half_gptq_3bit_kernelILb1ELi4EEEvPK6__halfPKjS6_S4_PS2_iiiibPKi
; %bb.0:
	s_load_dwordx8 s[8:15], s[0:1], 0x8
	s_load_dwordx4 s[16:19], s[0:1], 0x2c
	s_lshl_b32 s27, s4, 7
	s_lshl_b32 s26, s3, 2
	s_add_i32 s3, s27, 0x80
	v_cvt_f64_u32_e32 v[2:3], s3
	s_waitcnt lgkmcnt(0)
	v_cvt_f64_i32_e32 v[4:5], s17
	v_min_f64 v[2:3], v[2:3], v[4:5]
	v_cvt_i32_f64_e32 v1, v[2:3]
	v_add_u32_e32 v2, s27, v0
	v_readfirstlane_b32 s28, v1
	v_cmp_lt_u32_e32 vcc, v2, v1
	s_and_saveexec_b64 s[4:5], vcc
	s_cbranch_execz .LBB28_10
; %bb.1:
	s_load_dwordx2 s[22:23], s[0:1], 0x40
	s_load_dwordx2 s[6:7], s[0:1], 0x0
	v_mov_b32_e32 v3, 0
	v_mov_b64_e32 v[6:7], v[2:3]
	s_waitcnt lgkmcnt(0)
	s_cmp_lg_u64 s[22:23], 0
	s_cselect_b64 s[20:21], -1, 0
	s_cmp_eq_u64 s[22:23], 0
	v_lshl_add_u64 v[4:5], v[2:3], 2, s[22:23]
	s_cbranch_scc1 .LBB28_3
; %bb.2:
	global_load_dword v6, v[4:5], off
	s_waitcnt vmcnt(0)
	v_ashrrev_i32_e32 v7, 31, v6
.LBB28_3:
	s_mul_i32 s22, s26, s17
	s_ashr_i32 s23, s22, 31
	s_lshl_b64 s[0:1], s[22:23], 1
	s_add_u32 s0, s6, s0
	s_addc_u32 s1, s7, s1
	v_lshl_add_u64 v[6:7], v[6:7], 1, s[0:1]
	global_load_ushort v6, v[6:7], off
	v_lshlrev_b32_e32 v1, 1, v0
	v_cndmask_b32_e64 v7, 0, 1, s[20:21]
	v_cmp_ne_u32_e64 s[0:1], 1, v7
	s_andn2_b64 vcc, exec, s[20:21]
	s_waitcnt vmcnt(0)
	ds_write_b16 v1, v6
	v_mov_b64_e32 v[6:7], v[2:3]
	s_cbranch_vccnz .LBB28_5
; %bb.4:
	global_load_dword v6, v[4:5], off
	s_waitcnt vmcnt(0)
	v_ashrrev_i32_e32 v7, 31, v6
.LBB28_5:
	s_add_i32 s20, s22, s17
	s_ashr_i32 s21, s20, 31
	s_lshl_b64 s[22:23], s[20:21], 1
	s_add_u32 s22, s6, s22
	s_addc_u32 s23, s7, s23
	v_lshl_add_u64 v[6:7], v[6:7], 1, s[22:23]
	global_load_ushort v6, v[6:7], off
	s_and_b64 vcc, exec, s[0:1]
	s_waitcnt vmcnt(0)
	ds_write_b16 v1, v6 offset:256
	v_mov_b64_e32 v[6:7], v[2:3]
	s_cbranch_vccnz .LBB28_7
; %bb.6:
	global_load_dword v6, v[4:5], off
	s_waitcnt vmcnt(0)
	v_ashrrev_i32_e32 v7, 31, v6
.LBB28_7:
	s_add_i32 s20, s20, s17
	s_ashr_i32 s21, s20, 31
	s_lshl_b64 s[22:23], s[20:21], 1
	s_add_u32 s22, s6, s22
	s_addc_u32 s23, s7, s23
	v_lshl_add_u64 v[6:7], v[6:7], 1, s[22:23]
	global_load_ushort v6, v[6:7], off
	s_and_b64 vcc, exec, s[0:1]
	s_waitcnt vmcnt(0)
	ds_write_b16 v1, v6 offset:512
	s_cbranch_vccnz .LBB28_9
; %bb.8:
	global_load_dword v2, v[4:5], off
	s_waitcnt vmcnt(0)
	v_ashrrev_i32_e32 v3, 31, v2
.LBB28_9:
	s_add_i32 s0, s20, s17
	s_ashr_i32 s1, s0, 31
	s_lshl_b64 s[0:1], s[0:1], 1
	s_add_u32 s0, s6, s0
	s_addc_u32 s1, s7, s1
	v_lshl_add_u64 v[2:3], v[2:3], 1, s[0:1]
	global_load_ushort v2, v[2:3], off
	s_waitcnt vmcnt(0)
	ds_write_b16 v1, v2 offset:768
.LBB28_10:
	s_or_b64 exec, exec, s[4:5]
	v_lshlrev_b32_e32 v0, 2, v0
	v_lshl_add_u32 v12, s2, 9, v0
	v_cmp_gt_i32_e32 vcc, s16, v12
	s_and_saveexec_b64 s[0:1], vcc
	s_cbranch_execz .LBB28_64
; %bb.11:
	s_abs_i32 s0, s18
	v_cvt_f32_u32_e32 v1, s0
	s_sub_i32 s3, 0, s0
	s_abs_i32 s2, s17
	s_xor_b32 s1, s17, s18
	v_rcp_iflag_f32_e32 v1, v1
	s_ashr_i32 s1, s1, 31
	v_and_b32_e32 v2, 28, v0
	v_cmp_lt_u32_e32 vcc, 4, v2
	v_mul_f32_e32 v1, 0x4f7ffffe, v1
	v_cvt_u32_f32_e32 v1, v1
	s_waitcnt lgkmcnt(0)
	s_barrier
	v_readfirstlane_b32 s4, v1
	s_mul_i32 s3, s3, s4
	s_mul_hi_u32 s3, s4, s3
	s_add_i32 s4, s4, s3
	s_mul_hi_u32 s3, s2, s4
	s_mul_i32 s4, s3, s0
	s_sub_i32 s2, s2, s4
	s_add_i32 s5, s3, 1
	s_sub_i32 s4, s2, s0
	s_cmp_ge_u32 s2, s0
	s_cselect_b32 s3, s5, s3
	s_cselect_b32 s2, s4, s2
	s_add_i32 s4, s3, 1
	s_cmp_ge_u32 s2, s0
	s_cselect_b32 s0, s4, s3
	s_xor_b32 s0, s0, s1
	s_sub_i32 s29, s0, s1
	v_cvt_f32_u32_e32 v1, s29
	s_sub_i32 s0, 0, s29
                                        ; implicit-def: $vgpr3
                                        ; implicit-def: $vgpr0
	v_rcp_iflag_f32_e32 v1, v1
	s_nop 0
	v_mul_f32_e32 v1, 0x4f7ffffe, v1
	v_cvt_u32_f32_e32 v1, v1
	s_nop 0
	v_readfirstlane_b32 s1, v1
	s_mul_i32 s0, s0, s1
	s_mul_hi_u32 s0, s1, s0
	s_add_i32 s1, s1, s0
	s_mul_hi_u32 s0, s27, s1
	s_mul_i32 s1, s0, s29
	s_sub_i32 s1, s27, s1
	s_add_i32 s2, s0, 1
	s_sub_i32 s3, s1, s29
	s_cmp_ge_u32 s1, s29
	s_cselect_b32 s0, s2, s0
	s_cselect_b32 s1, s3, s1
	s_add_i32 s2, s0, 1
	s_cmp_ge_u32 s1, s29
	s_cselect_b32 s30, s2, s0
	s_and_saveexec_b64 s[0:1], vcc
	s_xor_b64 s[2:3], exec, s[0:1]
	s_cbranch_execz .LBB28_25
; %bb.12:
	v_cmp_ne_u32_e64 s[0:1], 8, v2
                                        ; implicit-def: $vgpr3
                                        ; implicit-def: $vgpr0
	s_and_saveexec_b64 s[4:5], s[0:1]
	s_xor_b64 s[4:5], exec, s[4:5]
	s_cbranch_execz .LBB28_22
; %bb.13:
	v_cmp_lt_u32_e64 s[0:1], 16, v2
                                        ; implicit-def: $vgpr3
                                        ; implicit-def: $vgpr0
	s_and_saveexec_b64 s[6:7], s[0:1]
	s_xor_b64 s[6:7], exec, s[6:7]
	s_cbranch_execz .LBB28_19
; %bb.14:
	s_mul_i32 s17, s30, s16
	v_lshl_add_u32 v0, v12, 1, v12
	s_ashr_i32 s0, s17, 31
	v_ashrrev_i32_e32 v1, 31, v0
	s_lshr_b32 s0, s0, 27
	v_lshrrev_b32_e32 v1, 27, v1
	s_add_i32 s0, s17, s0
	v_add_u32_e32 v0, v0, v1
	s_ashr_i32 s0, s0, 5
	v_ashrrev_i32_e32 v0, 5, v0
	v_mad_u64_u32 v[0:1], s[0:1], s0, 3, v[0:1]
	v_ashrrev_i32_e32 v1, 31, v0
	v_lshl_add_u64 v[0:1], v[0:1], 2, s[10:11]
	global_load_dword v4, v[0:1], off
	v_cmp_ne_u32_e64 s[0:1], 20, v2
                                        ; implicit-def: $vgpr3
	s_and_saveexec_b64 s[20:21], s[0:1]
	s_xor_b64 s[0:1], exec, s[20:21]
	s_cbranch_execz .LBB28_16
; %bb.15:
	v_not_b32_e32 v0, 63
	v_mad_u32_u24 v0, v2, 3, v0
	s_waitcnt vmcnt(0)
	v_lshrrev_b32_e32 v3, v0, v4
                                        ; implicit-def: $vgpr0_vgpr1
                                        ; implicit-def: $vgpr4
.LBB28_16:
	s_andn2_saveexec_b64 s[0:1], s[0:1]
	s_cbranch_execz .LBB28_18
; %bb.17:
	global_load_dword v0, v[0:1], off offset:4
	s_waitcnt vmcnt(0)
	v_alignbit_b32 v0, v0, v4, 28
	v_and_b32_e32 v3, 0xfff, v0
.LBB28_18:
	s_or_b64 exec, exec, s[0:1]
	v_mov_b32_e32 v0, s17
.LBB28_19:
	s_andn2_saveexec_b64 s[0:1], s[6:7]
	s_cbranch_execz .LBB28_21
; %bb.20:
	s_mul_i32 s17, s30, s16
	v_lshl_add_u32 v0, v12, 1, v12
	s_ashr_i32 s6, s17, 31
	v_ashrrev_i32_e32 v1, 31, v0
	s_lshr_b32 s6, s6, 27
	v_lshrrev_b32_e32 v1, 27, v1
	s_add_i32 s6, s17, s6
	v_add_u32_e32 v0, v0, v1
	s_ashr_i32 s6, s6, 5
	v_ashrrev_i32_e32 v0, 5, v0
	v_mad_u64_u32 v[0:1], s[6:7], s6, 3, v[0:1]
	v_ashrrev_i32_e32 v1, 31, v0
	v_lshl_add_u64 v[0:1], v[0:1], 2, s[10:11]
	global_load_dword v0, v[0:1], off
	v_not_b32_e32 v1, 31
	v_mad_u32_u24 v1, v2, 3, v1
	s_waitcnt vmcnt(0)
	v_lshrrev_b32_e32 v3, v1, v0
	v_mov_b32_e32 v0, s17
.LBB28_21:
	s_or_b64 exec, exec, s[0:1]
.LBB28_22:
	s_andn2_saveexec_b64 s[0:1], s[4:5]
	s_cbranch_execz .LBB28_24
; %bb.23:
	s_mul_i32 s6, s30, s16
	v_lshl_add_u32 v0, v12, 1, v12
	s_ashr_i32 s4, s6, 31
	v_ashrrev_i32_e32 v1, 31, v0
	s_lshr_b32 s4, s4, 27
	v_lshrrev_b32_e32 v1, 27, v1
	s_add_i32 s4, s6, s4
	v_add_u32_e32 v0, v0, v1
	s_ashr_i32 s4, s4, 5
	v_ashrrev_i32_e32 v0, 5, v0
	v_mad_u64_u32 v[0:1], s[4:5], s4, 3, v[0:1]
	v_ashrrev_i32_e32 v1, 31, v0
	v_lshl_add_u64 v[0:1], v[0:1], 2, s[10:11]
	global_load_dwordx2 v[0:1], v[0:1], off
	s_mov_b32 s4, 0x2010007
	s_waitcnt vmcnt(0)
	v_perm_b32 v0, v0, v1, s4
	v_and_b32_e32 v3, 0xfff, v0
	v_mov_b32_e32 v0, s6
.LBB28_24:
	s_or_b64 exec, exec, s[0:1]
.LBB28_25:
	s_or_saveexec_b64 s[0:1], s[2:3]
	v_lshl_add_u32 v1, v12, 1, v12
	s_waitcnt vmcnt(0)
	v_ashrrev_i32_e32 v4, 31, v1
	v_mul_u32_u24_e32 v23, 3, v2
	s_xor_b64 exec, exec, s[0:1]
	s_cbranch_execz .LBB28_27
; %bb.26:
	s_mul_i32 s4, s30, s16
	s_ashr_i32 s2, s4, 31
	s_lshr_b32 s2, s2, 27
	v_lshrrev_b32_e32 v0, 27, v4
	s_add_i32 s2, s4, s2
	v_add_u32_e32 v0, v1, v0
	s_ashr_i32 s2, s2, 5
	v_ashrrev_i32_e32 v0, 5, v0
	v_mad_u64_u32 v[6:7], s[2:3], s2, 3, v[0:1]
	v_ashrrev_i32_e32 v7, 31, v6
	v_lshl_add_u64 v[6:7], v[6:7], 2, s[10:11]
	global_load_dword v0, v[6:7], off
	s_waitcnt vmcnt(0)
	v_lshrrev_b32_e32 v3, v23, v0
	v_mov_b32_e32 v0, s4
.LBB28_27:
	s_or_b64 exec, exec, s[0:1]
	s_mov_b32 s31, 0
	v_mov_b32_e32 v26, 0
	s_cmp_ge_i32 s27, s28
	v_mov_b32_e32 v25, 0
	v_mov_b32_e32 v24, 0
	;; [unrolled: 1-line block ×7, first 2 shown]
	s_cbranch_scc1 .LBB28_48
; %bb.28:
	v_add_u32_e32 v6, v0, v12
	v_ashrrev_i32_e32 v7, 31, v6
	v_lshl_add_u64 v[6:7], v[6:7], 1, s[12:13]
	global_load_dwordx2 v[18:19], v[6:7], off
	s_lshr_b32 s0, s27, 5
	s_mul_i32 s0, s0, s16
	s_mul_i32 s6, s0, 3
	s_add_i32 s33, s29, s27
	s_ashr_i32 s7, s6, 31
	s_bitcmp1_b32 s19, 0
	s_cselect_b64 s[0:1], -1, 0
	v_lshrrev_b32_e32 v0, 27, v4
	s_xor_b64 s[0:1], s[0:1], -1
	v_add_u32_e32 v0, v1, v0
	s_ashr_i32 s17, s16, 31
	s_lshl_b64 s[6:7], s[6:7], 2
	v_ashrrev_i32_e32 v14, 5, v0
	v_not_b32_e32 v0, 63
	s_add_u32 s6, s8, s6
	v_ashrrev_i32_e32 v13, 31, v12
	v_mad_u32_u24 v28, v2, 3, v0
	v_not_b32_e32 v0, 31
	s_addc_u32 s7, s9, s7
	v_cndmask_b32_e64 v27, 0, 1, s[0:1]
	v_bfe_u32 v31, v3, 9, 3
	v_bfe_u32 v32, v3, 6, 3
	;; [unrolled: 1-line block ×3, first 2 shown]
	v_and_b32_e32 v34, 7, v3
	v_cmp_ne_u32_e64 s[0:1], 8, v2
	v_cmp_lt_u32_e64 s[2:3], 16, v2
	v_cmp_ne_u32_e64 s[4:5], 20, v2
	v_mad_u32_u24 v29, v2, 3, v0
	v_lshl_add_u64 v[16:17], v[12:13], 2, s[6:7]
	s_mul_hi_i32 s7, s16, 12
	s_mul_i32 s6, s16, 12
	s_lshl_b64 s[8:9], s[16:17], 2
	v_mov_b32_e32 v13, 0
	s_mov_b32 s17, 0x2010007
	s_mov_b32 s34, 0x10001
	;; [unrolled: 1-line block ×3, first 2 shown]
	s_movk_i32 s36, 0x3000
	s_movk_i32 s37, 0x2400
	s_mov_b32 s38, 0x7060302
	v_mov_b32_e32 v30, 0xe400e400
	v_mov_b32_e32 v15, 0
	;; [unrolled: 1-line block ×8, first 2 shown]
	s_branch .LBB28_31
.LBB28_29:                              ;   in Loop: Header=BB28_31 Depth=1
	s_or_b64 exec, exec, s[18:19]
	v_add_u32_e32 v0, s39, v12
	v_ashrrev_i32_e32 v1, 31, v0
	v_lshl_add_u64 v[0:1], v[0:1], 1, s[12:13]
	global_load_dwordx2 v[18:19], v[0:1], off
	s_add_i32 s33, s33, s29
	v_and_b32_e32 v34, 7, v2
	v_bfe_u32 v33, v2, 3, 3
	v_bfe_u32 v32, v2, 6, 3
	;; [unrolled: 1-line block ×3, first 2 shown]
.LBB28_30:                              ;   in Loop: Header=BB28_31 Depth=1
	v_lshl_add_u64 v[0:1], v[16:17], 0, s[8:9]
	global_load_dwordx4 v[8:11], v[16:17], off
	global_load_dwordx4 v[4:7], v[0:1], off
	v_lshl_add_u64 v[0:1], v[0:1], 0, s[8:9]
	global_load_dwordx4 v[0:3], v[0:1], off
	v_add_u32_e32 v35, v34, v27
	v_add_u32_e32 v36, v33, v27
	;; [unrolled: 1-line block ×3, first 2 shown]
	v_cvt_f32_u32_e32 v39, v35
	v_mad_u32_u24 v67, v35, s34, v30
	v_cvt_f32_u32_e32 v35, v36
	v_mad_u32_u24 v66, v36, s34, v30
	;; [unrolled: 2-line block ×3, first 2 shown]
	v_add_u32_e32 v38, v31, v27
	v_cvt_f32_u32_e32 v42, v38
	v_cvt_f16_f32_e32 v37, v36
	v_cvt_f16_f32_e32 v41, v39
	;; [unrolled: 1-line block ×4, first 2 shown]
	v_sub_f16_e32 v39, 0xd800, v37
	v_mul_u32_u24_e32 v80, 0x10001, v39
	v_sub_f16_e32 v35, 0xd800, v41
	v_mad_u32_u24 v64, v38, s34, v30
	v_sub_f16_e32 v38, 0xd800, v40
	v_mul_u32_u24_e32 v87, 0x10001, v35
	v_mul_u32_u24_e32 v81, 0x10001, v38
	v_sub_f16_e32 v42, 0xd800, v36
	v_mul_u32_u24_e32 v76, 0x10001, v42
	v_sub_f16_e32 v36, 0xcc00, v36
	v_sub_f16_e32 v41, 0xcc00, v41
	v_mul_u32_u24_e32 v103, 0x10001, v41
	v_sub_f16_e32 v37, 0xcc00, v37
	v_sub_f16_e32 v40, 0xcc00, v40
	v_mul_u32_u24_e32 v102, 0x10001, v40
	s_add_i32 s27, s27, 32
	v_lshl_add_u64 v[16:17], v[16:17], 0, s[6:7]
	s_waitcnt vmcnt(2)
	v_and_b32_e32 v44, 0x70007, v10
	v_and_b32_e32 v45, 0x380038, v10
	v_lshrrev_b32_e32 v53, 6, v10
	v_lshrrev_b32_e32 v71, 15, v10
	s_waitcnt vmcnt(0)
	v_and_b32_e32 v68, 0x70007, v0
	v_and_b32_e32 v69, 0x380038, v0
	v_lshrrev_b32_e32 v92, 6, v0
	v_lshrrev_b32_e32 v93, 13, v0
	v_and_b32_e32 v72, 0x70007, v1
	v_and_b32_e32 v73, 0x380038, v1
	v_lshrrev_b32_e32 v90, 6, v1
	v_lshrrev_b32_e32 v91, 13, v1
	v_or_b32_e32 v0, 0x64006400, v44
	v_or_b32_e32 v1, 0x64006400, v45
	v_mov_b32_e32 v10, s31
	v_and_b32_e32 v96, 0x70007, v2
	v_and_b32_e32 v97, 0x380038, v2
	v_lshrrev_b32_e32 v88, 6, v2
	v_lshrrev_b32_e32 v89, 13, v2
	v_and_b32_e32 v98, 0x70007, v3
	v_and_b32_e32 v99, 0x380038, v3
	v_lshrrev_b32_e32 v83, 6, v3
	v_lshrrev_b32_e32 v86, 13, v3
	v_pk_add_f16 v2, v65, v0
	v_pk_fma_f16 v3, v1, s36, v80 op_sel_hi:[1,0,1]
	ds_read2_b32 v[0:1], v10 offset1:1
	v_and_b32_e32 v35, 0x70007, v8
	v_and_b32_e32 v38, 0x380038, v8
	v_lshrrev_b32_e32 v49, 6, v8
	v_lshrrev_b32_e32 v75, 15, v8
	v_and_b32_e32 v8, 0x70007, v9
	v_and_b32_e32 v56, 0x70007, v4
	;; [unrolled: 1-line block ×3, first 2 shown]
	v_lshrrev_b32_e32 v55, 6, v4
	v_lshrrev_b32_e32 v82, 14, v4
	v_or_b32_e32 v4, 0x64006400, v35
	v_and_b32_e32 v39, 0x380038, v9
	v_and_b32_e32 v57, 0x70007, v11
	;; [unrolled: 1-line block ×4, first 2 shown]
	v_lshrrev_b32_e32 v54, 6, v5
	v_lshrrev_b32_e32 v79, 14, v5
	v_and_b32_e32 v59, 0x70007, v6
	v_and_b32_e32 v43, 0x380038, v6
	v_lshrrev_b32_e32 v51, 6, v6
	v_lshrrev_b32_e32 v78, 14, v6
	v_or_b32_e32 v5, 0x64006400, v38
	v_or_b32_e32 v6, 0x64006400, v8
	v_pk_add_f16 v8, v67, v4
	v_lshrrev_b32_e32 v48, 6, v9
	v_lshrrev_b32_e32 v74, 15, v9
	v_and_b32_e32 v61, 0x380038, v11
	v_lshrrev_b32_e32 v52, 6, v11
	v_lshrrev_b32_e32 v70, 15, v11
	v_and_b32_e32 v58, 0x70007, v7
	v_and_b32_e32 v42, 0x380038, v7
	v_lshrrev_b32_e32 v50, 6, v7
	v_lshrrev_b32_e32 v77, 14, v7
	v_or_b32_e32 v7, 0x64006400, v39
	v_pk_fma_f16 v9, v5, s36, v87 op_sel_hi:[1,0,1]
	v_pk_add_f16 v6, v66, v6
	v_or_b32_e32 v4, 0x64006400, v57
	s_waitcnt lgkmcnt(0)
	v_pk_fma_f16 v11, v8, v0, 0
	v_pk_fma_f16 v7, v7, s36, v81 op_sel_hi:[1,0,1]
	v_or_b32_e32 v5, 0x64006400, v61
	v_pk_add_f16 v4, v64, v4
	v_pk_fma_f16 v57, v9, v1, v11
	v_pk_fma_f16 v11, v6, v0, 0
	v_pk_fma_f16 v5, v5, s36, v76 op_sel_hi:[1,0,1]
	v_pk_fma_f16 v61, v7, v1, v11
	v_pk_fma_f16 v11, v2, v0, 0
	;; [unrolled: 1-line block ×3, first 2 shown]
	ds_read2_b32 v[62:63], v10 offset0:2 offset1:3
	ds_read2_b32 v[84:85], v10 offset0:4 offset1:5
	;; [unrolled: 1-line block ×3, first 2 shown]
	v_pk_fma_f16 v101, v5, v1, v0
	v_and_b32_e32 v0, 0x70007, v49
	v_or_b32_e32 v0, 0x64006400, v0
	v_pk_fma_f16 v100, v3, v1, v11
	v_and_b32_e32 v1, 0x380038, v49
	v_pk_add_f16 v44, v67, v0
	v_and_b32_e32 v0, 0x70007, v48
	v_or_b32_e32 v1, 0x64006400, v1
	v_or_b32_e32 v0, 0x64006400, v0
	v_pk_fma_f16 v45, v1, s36, v87 op_sel_hi:[1,0,1]
	v_and_b32_e32 v1, 0x380038, v48
	v_pk_add_f16 v38, v66, v0
	v_and_b32_e32 v0, 0x70007, v53
	v_or_b32_e32 v1, 0x64006400, v1
	v_or_b32_e32 v0, 0x64006400, v0
	s_waitcnt lgkmcnt(2)
	v_pk_fma_f16 v57, v44, v62, v57
	v_pk_fma_f16 v39, v1, s36, v81 op_sel_hi:[1,0,1]
	v_and_b32_e32 v1, 0x380038, v53
	v_pk_add_f16 v11, v65, v0
	v_and_b32_e32 v0, 0x70007, v52
	v_pk_fma_f16 v104, v45, v63, v57
	v_pk_fma_f16 v57, v38, v62, v61
	v_or_b32_e32 v1, 0x64006400, v1
	v_or_b32_e32 v0, 0x64006400, v0
	v_pk_fma_f16 v61, v39, v63, v57
	v_pk_fma_f16 v57, v11, v62, v100
	v_mul_u32_u24_e32 v100, 0x10001, v36
	v_and_b32_e32 v36, 0x1c001c0, v49
	v_pk_fma_f16 v35, v1, s36, v80 op_sel_hi:[1,0,1]
	v_pk_add_f16 v0, v64, v0
	v_or_b32_e32 v36, 0x64006400, v36
	v_and_b32_e32 v1, 0x380038, v52
	v_pk_fma_f16 v105, v35, v63, v57
	v_pk_fma_f16 v57, v0, v62, v101
	v_mul_u32_u24_e32 v101, 0x10001, v37
	v_or_b32_e32 v37, 0x64006400, v56
	v_pk_fma_f16 v56, v36, s37, v103 op_sel_hi:[1,0,1]
	v_and_b32_e32 v36, 0x1c001c0, v48
	v_or_b32_e32 v1, 0x64006400, v1
	v_or_b32_e32 v36, 0x64006400, v36
	v_pk_fma_f16 v1, v1, s36, v76 op_sel_hi:[1,0,1]
	v_pk_fma_f16 v48, v36, s37, v102 op_sel_hi:[1,0,1]
	v_and_b32_e32 v36, 0x1c001c0, v53
	v_pk_fma_f16 v62, v1, v63, v57
	v_pk_add_f16 v57, v67, v37
	v_or_b32_e32 v37, 0x64006400, v60
	v_or_b32_e32 v36, 0x64006400, v36
	v_pk_add_f16 v49, v66, v37
	v_or_b32_e32 v37, 0x64006400, v59
	v_pk_fma_f16 v40, v36, s37, v101 op_sel_hi:[1,0,1]
	v_and_b32_e32 v36, 0x1c001c0, v52
	s_waitcnt lgkmcnt(1)
	v_pk_fma_f16 v52, v56, v84, v104
	v_pk_add_f16 v41, v65, v37
	v_or_b32_e32 v36, 0x64006400, v36
	v_or_b32_e32 v37, 0x64006400, v58
	v_pk_fma_f16 v58, v57, v85, v52
	v_pk_fma_f16 v52, v48, v84, v61
	v_pk_fma_f16 v36, v36, s37, v100 op_sel_hi:[1,0,1]
	v_pk_fma_f16 v59, v49, v85, v52
	v_pk_fma_f16 v52, v40, v84, v105
	v_pk_add_f16 v37, v64, v37
	v_pk_fma_f16 v63, v41, v85, v52
	v_pk_fma_f16 v52, v36, v84, v62
	v_or_b32_e32 v47, 0x64006400, v47
	v_pk_fma_f16 v62, v37, v85, v52
	v_and_b32_e32 v52, 0x70007, v55
	v_or_b32_e32 v52, 0x64006400, v52
	v_pk_fma_f16 v61, v47, s36, v87 op_sel_hi:[1,0,1]
	v_or_b32_e32 v46, 0x64006400, v46
	v_and_b32_e32 v47, 0x70007, v54
	v_pk_add_f16 v60, v67, v52
	v_or_b32_e32 v47, 0x64006400, v47
	v_pk_fma_f16 v52, v46, s36, v81 op_sel_hi:[1,0,1]
	v_or_b32_e32 v43, 0x64006400, v43
	v_and_b32_e32 v46, 0x70007, v51
	s_waitcnt lgkmcnt(0)
	v_pk_fma_f16 v58, v61, v94, v58
	v_pk_add_f16 v53, v66, v47
	v_or_b32_e32 v47, 0x64006400, v46
	v_pk_fma_f16 v46, v43, s36, v80 op_sel_hi:[1,0,1]
	v_or_b32_e32 v42, 0x64006400, v42
	v_and_b32_e32 v43, 0x70007, v50
	v_pk_fma_f16 v110, v60, v95, v58
	v_pk_fma_f16 v58, v52, v94, v59
	v_pk_add_f16 v47, v65, v47
	v_or_b32_e32 v43, 0x64006400, v43
	v_pk_fma_f16 v42, v42, s36, v76 op_sel_hi:[1,0,1]
	v_pk_fma_f16 v111, v53, v95, v58
	v_pk_fma_f16 v58, v46, v94, v63
	v_pk_add_f16 v43, v64, v43
	v_pk_fma_f16 v112, v47, v95, v58
	v_pk_fma_f16 v58, v42, v94, v62
	ds_read2_b32 v[84:85], v10 offset0:8 offset1:9
	v_pk_fma_f16 v94, v43, v95, v58
	v_and_b32_e32 v58, 0x380038, v55
	v_and_b32_e32 v55, 0x1c001c0, v55
	v_or_b32_e32 v55, 0x64006400, v55
	v_pk_fma_f16 v63, v55, s37, v103 op_sel_hi:[1,0,1]
	v_and_b32_e32 v55, 0x380038, v54
	v_and_b32_e32 v54, 0x1c001c0, v54
	v_or_b32_e32 v54, 0x64006400, v54
	v_pk_fma_f16 v59, v54, s37, v102 op_sel_hi:[1,0,1]
	v_and_b32_e32 v54, 0x380038, v51
	v_and_b32_e32 v51, 0x1c001c0, v51
	v_or_b32_e32 v58, 0x64006400, v58
	v_or_b32_e32 v55, 0x64006400, v55
	;; [unrolled: 1-line block ×3, first 2 shown]
	v_pk_fma_f16 v62, v58, s36, v87 op_sel_hi:[1,0,1]
	v_pk_fma_f16 v58, v55, s36, v81 op_sel_hi:[1,0,1]
	;; [unrolled: 1-line block ×3, first 2 shown]
	v_and_b32_e32 v51, 0x380038, v50
	v_and_b32_e32 v50, 0x1c001c0, v50
	v_or_b32_e32 v51, 0x64006400, v51
	v_or_b32_e32 v95, 0x64006400, v50
	;; [unrolled: 1-line block ×3, first 2 shown]
	v_pk_fma_f16 v50, v51, s36, v76 op_sel_hi:[1,0,1]
	v_pk_fma_f16 v51, v95, s37, v100 op_sel_hi:[1,0,1]
	ds_read2_b32 v[104:105], v10 offset0:10 offset1:11
	ds_read2_b32 v[106:107], v10 offset0:12 offset1:13
	;; [unrolled: 1-line block ×3, first 2 shown]
	s_waitcnt lgkmcnt(3)
	v_pk_fma_f16 v95, v62, v84, v110
	v_pk_fma_f16 v54, v54, s36, v80 op_sel_hi:[1,0,1]
	v_pk_fma_f16 v110, v63, v85, v95
	v_pk_fma_f16 v95, v58, v84, v111
	v_or_b32_e32 v68, 0x64006400, v68
	v_pk_fma_f16 v111, v59, v85, v95
	v_pk_fma_f16 v95, v54, v84, v112
	;; [unrolled: 1-line block ×3, first 2 shown]
	v_or_b32_e32 v69, 0x64006400, v69
	v_pk_add_f16 v94, v67, v68
	v_or_b32_e32 v68, 0x64006400, v72
	v_pk_fma_f16 v112, v55, v85, v95
	v_pk_fma_f16 v113, v51, v85, v84
	v_pk_fma_f16 v95, v69, s36, v87 op_sel_hi:[1,0,1]
	v_or_b32_e32 v69, 0x64006400, v73
	v_pk_add_f16 v84, v66, v68
	v_or_b32_e32 v68, 0x64006400, v96
	s_waitcnt lgkmcnt(2)
	v_pk_fma_f16 v96, v94, v104, v110
	v_pk_fma_f16 v85, v69, s36, v81 op_sel_hi:[1,0,1]
	v_or_b32_e32 v69, 0x64006400, v97
	v_pk_add_f16 v72, v65, v68
	v_or_b32_e32 v68, 0x64006400, v98
	v_pk_fma_f16 v110, v95, v105, v96
	v_pk_fma_f16 v96, v84, v104, v111
	v_pk_fma_f16 v73, v69, s36, v80 op_sel_hi:[1,0,1]
	v_or_b32_e32 v69, 0x64006400, v99
	v_pk_add_f16 v68, v64, v68
	v_pk_fma_f16 v111, v85, v105, v96
	v_pk_fma_f16 v96, v72, v104, v112
	v_pk_fma_f16 v69, v69, s36, v76 op_sel_hi:[1,0,1]
	v_pk_fma_f16 v112, v73, v105, v96
	v_pk_fma_f16 v96, v68, v104, v113
	v_and_b32_e32 v82, 0x20002, v82
	v_pk_fma_f16 v104, v69, v105, v96
	v_and_b32_e32 v96, 0x380038, v92
	v_or_b32_e32 v96, 0x64006400, v96
	v_pk_fma_f16 v97, v96, s36, v87 op_sel_hi:[1,0,1]
	v_and_b32_e32 v87, 0x380038, v90
	v_or_b32_e32 v87, 0x64006400, v87
	v_pk_fma_f16 v96, v87, s36, v81 op_sel_hi:[1,0,1]
	;; [unrolled: 3-line block ×4, first 2 shown]
	v_and_b32_e32 v81, 0x70007, v92
	v_and_or_b32 v75, v75, s34, v82
	v_and_b32_e32 v82, 0x40004, v93
	v_or_b32_e32 v81, 0x64006400, v81
	v_or3_b32 v75, v75, v82, s35
	v_pk_add_f16 v99, v67, v81
	v_and_b32_e32 v82, 0x1c001c0, v92
	v_pk_add_f16 v92, v67, v75
	v_and_b32_e32 v67, 0x20002, v79
	v_and_b32_e32 v81, 0x70007, v90
	v_and_or_b32 v67, v74, s34, v67
	v_and_b32_e32 v74, 0x40004, v91
	v_or_b32_e32 v81, 0x64006400, v81
	v_or3_b32 v67, v67, v74, s35
	v_pk_add_f16 v98, v66, v81
	v_pk_add_f16 v75, v66, v67
	v_and_b32_e32 v66, 0x20002, v78
	v_and_b32_e32 v81, 0x70007, v88
	v_and_or_b32 v66, v71, s34, v66
	v_and_b32_e32 v67, 0x40004, v89
	v_or_b32_e32 v81, 0x64006400, v81
	v_or3_b32 v66, v66, v67, s35
	v_pk_add_f16 v87, v65, v81
	v_and_b32_e32 v67, 0x1c001c0, v88
	v_pk_add_f16 v71, v65, v66
	v_and_b32_e32 v65, 0x20002, v77
	ds_read2_b32 v[88:89], v10 offset0:64 offset1:65
	v_and_or_b32 v65, v70, s34, v65
	v_and_b32_e32 v66, 0x40004, v86
	v_and_b32_e32 v74, 0x1c001c0, v90
	v_or3_b32 v66, v65, v66, s35
	v_and_b32_e32 v65, 0x1c001c0, v83
	v_or_b32_e32 v82, 0x64006400, v82
	v_or_b32_e32 v74, 0x64006400, v74
	;; [unrolled: 1-line block ×4, first 2 shown]
	v_pk_fma_f16 v82, v82, s37, v103 op_sel_hi:[1,0,1]
	v_pk_fma_f16 v74, v74, s37, v102 op_sel_hi:[1,0,1]
	;; [unrolled: 1-line block ×4, first 2 shown]
	ds_read2_b32 v[90:91], v10 offset0:66 offset1:67
	ds_read2_b32 v[100:101], v10 offset0:68 offset1:69
	;; [unrolled: 1-line block ×3, first 2 shown]
	v_and_b32_e32 v81, 0x70007, v83
	s_waitcnt lgkmcnt(3)
	v_pk_fma_f16 v79, v8, v88, 0
	v_pk_fma_f16 v83, v6, v88, 0
	;; [unrolled: 1-line block ×7, first 2 shown]
	s_waitcnt lgkmcnt(2)
	v_pk_fma_f16 v88, v0, v90, v88
	v_pk_fma_f16 v86, v3, v89, v86
	v_pk_fma_f16 v88, v1, v91, v88
	v_pk_fma_f16 v79, v44, v90, v79
	s_waitcnt lgkmcnt(1)
	v_pk_fma_f16 v88, v36, v100, v88
	v_pk_fma_f16 v83, v38, v90, v83
	;; [unrolled: 1-line block ×7, first 2 shown]
	s_waitcnt lgkmcnt(0)
	v_pk_fma_f16 v90, v42, v102, v88
	ds_read2_b32 v[88:89], v10 offset0:72 offset1:73
	v_pk_fma_f16 v79, v56, v100, v79
	v_pk_fma_f16 v83, v48, v100, v83
	;; [unrolled: 1-line block ×13, first 2 shown]
	ds_read2_b32 v[90:91], v10 offset0:74 offset1:75
	ds_read2_b32 v[100:101], v10 offset0:76 offset1:77
	;; [unrolled: 1-line block ×3, first 2 shown]
	s_waitcnt lgkmcnt(3)
	v_pk_fma_f16 v79, v62, v88, v79
	v_pk_fma_f16 v86, v54, v88, v86
	;; [unrolled: 1-line block ×8, first 2 shown]
	s_waitcnt lgkmcnt(2)
	v_pk_fma_f16 v79, v94, v90, v79
	v_pk_fma_f16 v86, v72, v90, v86
	v_or_b32_e32 v81, 0x64006400, v81
	v_pk_fma_f16 v79, v95, v91, v79
	v_pk_fma_f16 v83, v84, v90, v83
	;; [unrolled: 1-line block ×4, first 2 shown]
	v_pk_add_f16 v81, v64, v81
	v_pk_fma_f16 v83, v85, v91, v83
	v_pk_fma_f16 v88, v69, v91, v88
	s_waitcnt lgkmcnt(1)
	v_pk_fma_f16 v79, v99, v100, v79
	v_pk_fma_f16 v86, v87, v100, v86
	;; [unrolled: 1-line block ×8, first 2 shown]
	s_waitcnt lgkmcnt(0)
	v_pk_fma_f16 v79, v82, v102, v79
	v_pk_fma_f16 v105, v99, v106, v110
	;; [unrolled: 1-line block ×5, first 2 shown]
	ds_read2_b32 v[90:91], v10 offset0:128 offset1:129
	v_pk_fma_f16 v104, v81, v106, v104
	v_pk_fma_f16 v105, v97, v107, v105
	;; [unrolled: 1-line block ×3, first 2 shown]
	v_pk_add_f16 v64, v64, v66
	v_pk_fma_f16 v88, v75, v103, v79
	v_pk_fma_f16 v79, v67, v102, v89
	;; [unrolled: 1-line block ×6, first 2 shown]
	ds_read2_b32 v[100:101], v10 offset0:130 offset1:131
	ds_read2_b32 v[102:103], v10 offset0:132 offset1:133
	;; [unrolled: 1-line block ×3, first 2 shown]
	s_waitcnt lgkmcnt(3)
	v_pk_fma_f16 v93, v6, v90, 0
	v_pk_fma_f16 v110, v98, v106, v111
	;; [unrolled: 1-line block ×10, first 2 shown]
	s_waitcnt lgkmcnt(2)
	v_pk_fma_f16 v91, v38, v100, v93
	v_pk_fma_f16 v93, v11, v100, v106
	;; [unrolled: 1-line block ×5, first 2 shown]
	s_waitcnt lgkmcnt(1)
	v_pk_fma_f16 v91, v48, v102, v91
	v_pk_fma_f16 v90, v1, v101, v90
	;; [unrolled: 1-line block ×6, first 2 shown]
	s_waitcnt lgkmcnt(0)
	v_pk_fma_f16 v91, v52, v104, v91
	v_pk_fma_f16 v89, v44, v100, v89
	;; [unrolled: 1-line block ×8, first 2 shown]
	ds_read2_b32 v[90:91], v10 offset0:136 offset1:137
	v_pk_fma_f16 v89, v56, v102, v89
	v_pk_fma_f16 v110, v96, v107, v110
	;; [unrolled: 1-line block ×7, first 2 shown]
	ds_read2_b32 v[100:101], v10 offset0:138 offset1:139
	ds_read2_b32 v[102:103], v10 offset0:140 offset1:141
	;; [unrolled: 1-line block ×3, first 2 shown]
	s_waitcnt lgkmcnt(3)
	v_pk_fma_f16 v106, v58, v90, v106
	v_pk_fma_f16 v89, v62, v90, v89
	;; [unrolled: 1-line block ×8, first 2 shown]
	s_waitcnt lgkmcnt(2)
	v_pk_fma_f16 v91, v84, v100, v106
	v_pk_fma_f16 v93, v72, v100, v93
	;; [unrolled: 1-line block ×5, first 2 shown]
	s_waitcnt lgkmcnt(1)
	v_pk_fma_f16 v91, v98, v102, v91
	v_pk_fma_f16 v90, v69, v101, v90
	;; [unrolled: 1-line block ×6, first 2 shown]
	s_waitcnt lgkmcnt(0)
	v_pk_fma_f16 v91, v74, v104, v91
	v_pk_fma_f16 v89, v94, v100, v89
	v_pk_fma_f16 v90, v76, v103, v90
	v_pk_fma_f16 v106, v75, v105, v91
	v_pk_fma_f16 v91, v67, v104, v93
	v_pk_fma_f16 v89, v95, v101, v89
	v_pk_fma_f16 v93, v71, v105, v91
	v_pk_fma_f16 v100, v65, v104, v90
	ds_read2_b32 v[90:91], v10 offset0:192 offset1:193
	v_pk_fma_f16 v89, v99, v102, v89
	v_pk_fma_f16 v107, v64, v105, v100
	;; [unrolled: 1-line block ×5, first 2 shown]
	s_waitcnt lgkmcnt(0)
	v_pk_fma_f16 v8, v8, v90, 0
	v_pk_fma_f16 v89, v92, v105, v89
	ds_read2_b32 v[100:101], v10 offset0:194 offset1:195
	ds_read2_b32 v[102:103], v10 offset0:196 offset1:197
	;; [unrolled: 1-line block ×3, first 2 shown]
	v_pk_fma_f16 v8, v9, v91, v8
	v_pk_fma_f16 v2, v2, v90, 0
	s_waitcnt lgkmcnt(2)
	v_pk_fma_f16 v8, v44, v100, v8
	v_pk_fma_f16 v6, v6, v90, 0
	;; [unrolled: 1-line block ×5, first 2 shown]
	s_waitcnt lgkmcnt(1)
	v_pk_fma_f16 v8, v56, v102, v8
	v_pk_fma_f16 v6, v7, v91, v6
	;; [unrolled: 1-line block ×7, first 2 shown]
	s_waitcnt lgkmcnt(0)
	v_pk_fma_f16 v44, v61, v104, v8
	ds_read2_b32 v[8:9], v10 offset0:200 offset1:201
	v_pk_fma_f16 v6, v39, v101, v6
	v_pk_fma_f16 v2, v35, v101, v2
	;; [unrolled: 1-line block ×16, first 2 shown]
	ds_read2_b32 v[44:45], v10 offset0:202 offset1:203
	ds_read2_b32 v[56:57], v10 offset0:204 offset1:205
	;; [unrolled: 1-line block ×3, first 2 shown]
	v_pk_fma_f16 v6, v53, v105, v6
	v_pk_fma_f16 v2, v47, v105, v2
	;; [unrolled: 1-line block ×3, first 2 shown]
	s_waitcnt lgkmcnt(3)
	v_pk_fma_f16 v10, v62, v8, v108
	v_pk_fma_f16 v6, v58, v8, v6
	;; [unrolled: 1-line block ×10, first 2 shown]
	s_waitcnt lgkmcnt(2)
	v_pk_fma_f16 v10, v94, v44, v10
	v_pk_fma_f16 v6, v84, v44, v6
	v_pack_b32_f16 v7, v77, v78
	v_perm_b32 v38, v78, v77, s38
	v_pk_fma_f16 v2, v72, v44, v2
	v_pk_fma_f16 v0, v68, v44, v0
	v_pack_b32_f16 v1, v66, v70
	v_perm_b32 v3, v70, v66, s38
	v_pk_fma_f16 v10, v95, v45, v10
	v_pk_fma_f16 v6, v85, v45, v6
	v_pk_add_f16 v7, v7, v38
	v_pk_fma_f16 v2, v73, v45, v2
	v_pk_fma_f16 v0, v69, v45, v0
	v_pk_add_f16 v1, v1, v3
	s_waitcnt lgkmcnt(1)
	v_pk_fma_f16 v10, v99, v56, v10
	v_pk_fma_f16 v6, v98, v56, v6
	;; [unrolled: 1-line block ×3, first 2 shown]
	v_pack_b32_f16 v7, v86, v88
	v_perm_b32 v38, v88, v86, s38
	v_pk_fma_f16 v2, v87, v56, v2
	v_pk_fma_f16 v0, v81, v56, v0
	;; [unrolled: 1-line block ×3, first 2 shown]
	v_pack_b32_f16 v1, v79, v83
	v_perm_b32 v3, v83, v79, s38
	v_pk_fma_f16 v10, v97, v57, v10
	v_pk_fma_f16 v6, v96, v57, v6
	v_pk_add_f16 v7, v7, v38
	v_pk_fma_f16 v2, v80, v57, v2
	v_pk_fma_f16 v0, v76, v57, v0
	v_pk_add_f16 v1, v1, v3
	s_waitcnt lgkmcnt(0)
	v_pk_fma_f16 v10, v82, v60, v10
	v_pk_fma_f16 v6, v74, v60, v6
	;; [unrolled: 1-line block ×3, first 2 shown]
	v_pack_b32_f16 v7, v89, v106
	v_perm_b32 v38, v106, v89, s38
	v_pk_fma_f16 v2, v67, v60, v2
	v_pk_fma_f16 v0, v65, v60, v0
	;; [unrolled: 1-line block ×3, first 2 shown]
	v_pack_b32_f16 v1, v93, v107
	v_perm_b32 v3, v107, v93, s38
	v_pk_fma_f16 v10, v92, v61, v10
	v_pk_fma_f16 v6, v75, v61, v6
	v_pk_add_f16 v7, v7, v38
	v_pk_fma_f16 v2, v71, v61, v2
	v_pk_fma_f16 v0, v64, v61, v0
	v_pk_add_f16 v1, v1, v3
	v_pk_fma_f16 v21, v7, v18, v21
	v_pack_b32_f16 v7, v10, v6
	v_perm_b32 v6, v6, v10, s38
	v_pk_fma_f16 v20, v1, v19, v20
	v_pack_b32_f16 v1, v2, v0
	v_perm_b32 v0, v0, v2, s38
	v_pk_add_f16 v6, v7, v6
	v_pk_add_f16 v0, v1, v0
	s_add_i32 s31, s31, 64
	v_pk_fma_f16 v15, v6, v18, v15
	v_pk_fma_f16 v13, v0, v19, v13
	s_cmp_ge_i32 s27, s28
	s_cbranch_scc1 .LBB28_48
.LBB28_31:                              ; =>This Inner Loop Header: Depth=1
	s_cmp_lg_u32 s27, s33
	s_cbranch_scc1 .LBB28_30
; %bb.32:                               ;   in Loop: Header=BB28_31 Depth=1
	s_add_i32 s30, s30, 1
	s_mul_i32 s39, s30, s16
	s_ashr_i32 s18, s39, 31
	s_lshr_b32 s18, s18, 27
	s_add_i32 s18, s39, s18
	s_ashr_i32 s18, s18, 5
	v_mad_u64_u32 v[0:1], s[18:19], s18, 3, v[14:15]
	v_ashrrev_i32_e32 v1, 31, v0
	v_lshl_add_u64 v[0:1], v[0:1], 2, s[10:11]
	global_load_dword v3, v[0:1], off
                                        ; implicit-def: $vgpr2
	s_and_saveexec_b64 s[18:19], vcc
	s_xor_b64 s[18:19], exec, s[18:19]
	s_cbranch_execz .LBB28_46
; %bb.33:                               ;   in Loop: Header=BB28_31 Depth=1
                                        ; implicit-def: $vgpr2
	s_and_saveexec_b64 s[20:21], s[0:1]
	s_xor_b64 s[20:21], exec, s[20:21]
	s_cbranch_execz .LBB28_43
; %bb.34:                               ;   in Loop: Header=BB28_31 Depth=1
                                        ; implicit-def: $vgpr2
	s_and_saveexec_b64 s[22:23], s[2:3]
	s_xor_b64 s[22:23], exec, s[22:23]
	s_cbranch_execz .LBB28_40
; %bb.35:                               ;   in Loop: Header=BB28_31 Depth=1
                                        ; implicit-def: $vgpr2
	s_and_saveexec_b64 s[24:25], s[4:5]
	s_xor_b64 s[24:25], exec, s[24:25]
	s_cbranch_execz .LBB28_37
; %bb.36:                               ;   in Loop: Header=BB28_31 Depth=1
	s_waitcnt vmcnt(0)
	v_lshrrev_b32_e32 v2, v28, v3
                                        ; implicit-def: $vgpr0_vgpr1
                                        ; implicit-def: $vgpr3
.LBB28_37:                              ;   in Loop: Header=BB28_31 Depth=1
	s_andn2_saveexec_b64 s[24:25], s[24:25]
	s_cbranch_execz .LBB28_39
; %bb.38:                               ;   in Loop: Header=BB28_31 Depth=1
	global_load_dword v0, v[0:1], off offset:4
	s_waitcnt vmcnt(0)
	v_alignbit_b32 v0, v0, v3, 28
	v_and_b32_e32 v2, 0xfff, v0
.LBB28_39:                              ;   in Loop: Header=BB28_31 Depth=1
	s_or_b64 exec, exec, s[24:25]
                                        ; implicit-def: $vgpr3
.LBB28_40:                              ;   in Loop: Header=BB28_31 Depth=1
	s_andn2_saveexec_b64 s[22:23], s[22:23]
	s_cbranch_execz .LBB28_42
; %bb.41:                               ;   in Loop: Header=BB28_31 Depth=1
	s_waitcnt vmcnt(0)
	v_lshrrev_b32_e32 v2, v29, v3
.LBB28_42:                              ;   in Loop: Header=BB28_31 Depth=1
	s_or_b64 exec, exec, s[22:23]
                                        ; implicit-def: $vgpr0_vgpr1
                                        ; implicit-def: $vgpr3
.LBB28_43:                              ;   in Loop: Header=BB28_31 Depth=1
	s_andn2_saveexec_b64 s[20:21], s[20:21]
	s_cbranch_execz .LBB28_45
; %bb.44:                               ;   in Loop: Header=BB28_31 Depth=1
	global_load_dword v0, v[0:1], off offset:4
	s_waitcnt vmcnt(0)
	v_perm_b32 v0, v3, v0, s17
	v_and_b32_e32 v2, 0xfff, v0
.LBB28_45:                              ;   in Loop: Header=BB28_31 Depth=1
	s_or_b64 exec, exec, s[20:21]
                                        ; implicit-def: $vgpr3
.LBB28_46:                              ;   in Loop: Header=BB28_31 Depth=1
	s_andn2_saveexec_b64 s[18:19], s[18:19]
	s_cbranch_execz .LBB28_29
; %bb.47:                               ;   in Loop: Header=BB28_31 Depth=1
	s_waitcnt vmcnt(0)
	v_lshrrev_b32_e32 v2, v23, v3
	s_branch .LBB28_29
.LBB28_48:
	s_mul_i32 s26, s26, s16
	v_add_u32_e32 v0, s26, v12
	v_ashrrev_i32_e32 v1, 31, v0
	v_lshl_add_u64 v[2:3], v[0:1], 1, s[14:15]
	global_load_dword v5, v[2:3], off
	s_mov_b64 s[0:1], 0
.LBB28_49:                              ; =>This Inner Loop Header: Depth=1
	s_waitcnt vmcnt(0)
	v_pk_add_f16 v4, v26, v5
	global_atomic_cmpswap v1, v[2:3], v[4:5], off sc0
	s_waitcnt vmcnt(0)
	v_cmp_eq_u32_e32 vcc, v5, v1
	s_or_b64 s[0:1], vcc, s[0:1]
	v_mov_b32_e32 v5, v1
	s_andn2_b64 exec, exec, s[0:1]
	s_cbranch_execnz .LBB28_49
; %bb.50:
	s_or_b64 exec, exec, s[0:1]
	global_load_dword v5, v[2:3], off offset:4
	s_mov_b64 s[0:1], 0
.LBB28_51:                              ; =>This Inner Loop Header: Depth=1
	s_waitcnt vmcnt(0)
	v_pk_add_f16 v4, v25, v5
	global_atomic_cmpswap v1, v[2:3], v[4:5], off offset:4 sc0
	s_waitcnt vmcnt(0)
	v_cmp_eq_u32_e32 vcc, v5, v1
	s_or_b64 s[0:1], vcc, s[0:1]
	v_mov_b32_e32 v5, v1
	s_andn2_b64 exec, exec, s[0:1]
	s_cbranch_execnz .LBB28_51
; %bb.52:
	s_or_b64 exec, exec, s[0:1]
	v_add_u32_e32 v0, s16, v0
	v_ashrrev_i32_e32 v1, 31, v0
	v_lshl_add_u64 v[2:3], v[0:1], 1, s[14:15]
	global_load_dword v5, v[2:3], off
	s_mov_b64 s[0:1], 0
.LBB28_53:                              ; =>This Inner Loop Header: Depth=1
	s_waitcnt vmcnt(0)
	v_pk_add_f16 v4, v24, v5
	global_atomic_cmpswap v1, v[2:3], v[4:5], off sc0
	s_waitcnt vmcnt(0)
	v_cmp_eq_u32_e32 vcc, v5, v1
	s_or_b64 s[0:1], vcc, s[0:1]
	v_mov_b32_e32 v5, v1
	s_andn2_b64 exec, exec, s[0:1]
	s_cbranch_execnz .LBB28_53
; %bb.54:
	s_or_b64 exec, exec, s[0:1]
	global_load_dword v5, v[2:3], off offset:4
	s_mov_b64 s[0:1], 0
.LBB28_55:                              ; =>This Inner Loop Header: Depth=1
	s_waitcnt vmcnt(0)
	v_pk_add_f16 v4, v22, v5
	global_atomic_cmpswap v1, v[2:3], v[4:5], off offset:4 sc0
	s_waitcnt vmcnt(0)
	v_cmp_eq_u32_e32 vcc, v5, v1
	s_or_b64 s[0:1], vcc, s[0:1]
	v_mov_b32_e32 v5, v1
	s_andn2_b64 exec, exec, s[0:1]
	s_cbranch_execnz .LBB28_55
; %bb.56:
	s_or_b64 exec, exec, s[0:1]
	;; [unrolled: 31-line block ×3, first 2 shown]
	v_add_u32_e32 v0, s16, v0
	v_ashrrev_i32_e32 v1, 31, v0
	v_lshl_add_u64 v[0:1], v[0:1], 1, s[14:15]
	global_load_dword v3, v[0:1], off
	s_mov_b64 s[0:1], 0
.LBB28_61:                              ; =>This Inner Loop Header: Depth=1
	s_waitcnt vmcnt(0)
	v_pk_add_f16 v2, v15, v3
	global_atomic_cmpswap v2, v[0:1], v[2:3], off sc0
	s_waitcnt vmcnt(0)
	v_cmp_eq_u32_e32 vcc, v3, v2
	s_or_b64 s[0:1], vcc, s[0:1]
	v_mov_b32_e32 v3, v2
	s_andn2_b64 exec, exec, s[0:1]
	s_cbranch_execnz .LBB28_61
; %bb.62:
	s_or_b64 exec, exec, s[0:1]
	global_load_dword v3, v[0:1], off offset:4
	s_mov_b64 s[0:1], 0
.LBB28_63:                              ; =>This Inner Loop Header: Depth=1
	s_waitcnt vmcnt(0)
	v_pk_add_f16 v2, v13, v3
	global_atomic_cmpswap v2, v[0:1], v[2:3], off offset:4 sc0
	s_waitcnt vmcnt(0)
	v_cmp_eq_u32_e32 vcc, v3, v2
	s_or_b64 s[0:1], vcc, s[0:1]
	v_mov_b32_e32 v3, v2
	s_andn2_b64 exec, exec, s[0:1]
	s_cbranch_execnz .LBB28_63
.LBB28_64:
	s_endpgm
	.section	.rodata,"a",@progbits
	.p2align	6, 0x0
	.amdhsa_kernel _ZN4vllm4gptq33gemm_half_q_half_gptq_3bit_kernelILb1ELi4EEEvPK6__halfPKjS6_S4_PS2_iiiibPKi
		.amdhsa_group_segment_fixed_size 1024
		.amdhsa_private_segment_fixed_size 0
		.amdhsa_kernarg_size 72
		.amdhsa_user_sgpr_count 2
		.amdhsa_user_sgpr_dispatch_ptr 0
		.amdhsa_user_sgpr_queue_ptr 0
		.amdhsa_user_sgpr_kernarg_segment_ptr 1
		.amdhsa_user_sgpr_dispatch_id 0
		.amdhsa_user_sgpr_kernarg_preload_length 0
		.amdhsa_user_sgpr_kernarg_preload_offset 0
		.amdhsa_user_sgpr_private_segment_size 0
		.amdhsa_uses_dynamic_stack 0
		.amdhsa_enable_private_segment 0
		.amdhsa_system_sgpr_workgroup_id_x 1
		.amdhsa_system_sgpr_workgroup_id_y 1
		.amdhsa_system_sgpr_workgroup_id_z 1
		.amdhsa_system_sgpr_workgroup_info 0
		.amdhsa_system_vgpr_workitem_id 0
		.amdhsa_next_free_vgpr 114
		.amdhsa_next_free_sgpr 40
		.amdhsa_accum_offset 116
		.amdhsa_reserve_vcc 1
		.amdhsa_float_round_mode_32 0
		.amdhsa_float_round_mode_16_64 0
		.amdhsa_float_denorm_mode_32 3
		.amdhsa_float_denorm_mode_16_64 3
		.amdhsa_dx10_clamp 1
		.amdhsa_ieee_mode 1
		.amdhsa_fp16_overflow 0
		.amdhsa_tg_split 0
		.amdhsa_exception_fp_ieee_invalid_op 0
		.amdhsa_exception_fp_denorm_src 0
		.amdhsa_exception_fp_ieee_div_zero 0
		.amdhsa_exception_fp_ieee_overflow 0
		.amdhsa_exception_fp_ieee_underflow 0
		.amdhsa_exception_fp_ieee_inexact 0
		.amdhsa_exception_int_div_zero 0
	.end_amdhsa_kernel
	.section	.text._ZN4vllm4gptq33gemm_half_q_half_gptq_3bit_kernelILb1ELi4EEEvPK6__halfPKjS6_S4_PS2_iiiibPKi,"axG",@progbits,_ZN4vllm4gptq33gemm_half_q_half_gptq_3bit_kernelILb1ELi4EEEvPK6__halfPKjS6_S4_PS2_iiiibPKi,comdat
.Lfunc_end28:
	.size	_ZN4vllm4gptq33gemm_half_q_half_gptq_3bit_kernelILb1ELi4EEEvPK6__halfPKjS6_S4_PS2_iiiibPKi, .Lfunc_end28-_ZN4vllm4gptq33gemm_half_q_half_gptq_3bit_kernelILb1ELi4EEEvPK6__halfPKjS6_S4_PS2_iiiibPKi
                                        ; -- End function
	.set _ZN4vllm4gptq33gemm_half_q_half_gptq_3bit_kernelILb1ELi4EEEvPK6__halfPKjS6_S4_PS2_iiiibPKi.num_vgpr, 114
	.set _ZN4vllm4gptq33gemm_half_q_half_gptq_3bit_kernelILb1ELi4EEEvPK6__halfPKjS6_S4_PS2_iiiibPKi.num_agpr, 0
	.set _ZN4vllm4gptq33gemm_half_q_half_gptq_3bit_kernelILb1ELi4EEEvPK6__halfPKjS6_S4_PS2_iiiibPKi.numbered_sgpr, 40
	.set _ZN4vllm4gptq33gemm_half_q_half_gptq_3bit_kernelILb1ELi4EEEvPK6__halfPKjS6_S4_PS2_iiiibPKi.num_named_barrier, 0
	.set _ZN4vllm4gptq33gemm_half_q_half_gptq_3bit_kernelILb1ELi4EEEvPK6__halfPKjS6_S4_PS2_iiiibPKi.private_seg_size, 0
	.set _ZN4vllm4gptq33gemm_half_q_half_gptq_3bit_kernelILb1ELi4EEEvPK6__halfPKjS6_S4_PS2_iiiibPKi.uses_vcc, 1
	.set _ZN4vllm4gptq33gemm_half_q_half_gptq_3bit_kernelILb1ELi4EEEvPK6__halfPKjS6_S4_PS2_iiiibPKi.uses_flat_scratch, 0
	.set _ZN4vllm4gptq33gemm_half_q_half_gptq_3bit_kernelILb1ELi4EEEvPK6__halfPKjS6_S4_PS2_iiiibPKi.has_dyn_sized_stack, 0
	.set _ZN4vllm4gptq33gemm_half_q_half_gptq_3bit_kernelILb1ELi4EEEvPK6__halfPKjS6_S4_PS2_iiiibPKi.has_recursion, 0
	.set _ZN4vllm4gptq33gemm_half_q_half_gptq_3bit_kernelILb1ELi4EEEvPK6__halfPKjS6_S4_PS2_iiiibPKi.has_indirect_call, 0
	.section	.AMDGPU.csdata,"",@progbits
; Kernel info:
; codeLenInByte = 7044
; TotalNumSgprs: 46
; NumVgprs: 114
; NumAgprs: 0
; TotalNumVgprs: 114
; ScratchSize: 0
; MemoryBound: 0
; FloatMode: 240
; IeeeMode: 1
; LDSByteSize: 1024 bytes/workgroup (compile time only)
; SGPRBlocks: 5
; VGPRBlocks: 14
; NumSGPRsForWavesPerEU: 46
; NumVGPRsForWavesPerEU: 114
; AccumOffset: 116
; Occupancy: 4
; WaveLimiterHint : 0
; COMPUTE_PGM_RSRC2:SCRATCH_EN: 0
; COMPUTE_PGM_RSRC2:USER_SGPR: 2
; COMPUTE_PGM_RSRC2:TRAP_HANDLER: 0
; COMPUTE_PGM_RSRC2:TGID_X_EN: 1
; COMPUTE_PGM_RSRC2:TGID_Y_EN: 1
; COMPUTE_PGM_RSRC2:TGID_Z_EN: 1
; COMPUTE_PGM_RSRC2:TIDIG_COMP_CNT: 0
; COMPUTE_PGM_RSRC3_GFX90A:ACCUM_OFFSET: 28
; COMPUTE_PGM_RSRC3_GFX90A:TG_SPLIT: 0
	.section	.text._ZN4vllm4gptq33gemm_half_q_half_gptq_4bit_kernelILb1ELi4EEEvPK6__halfPKjS6_S4_PS2_iiiibPKi,"axG",@progbits,_ZN4vllm4gptq33gemm_half_q_half_gptq_4bit_kernelILb1ELi4EEEvPK6__halfPKjS6_S4_PS2_iiiibPKi,comdat
	.protected	_ZN4vllm4gptq33gemm_half_q_half_gptq_4bit_kernelILb1ELi4EEEvPK6__halfPKjS6_S4_PS2_iiiibPKi ; -- Begin function _ZN4vllm4gptq33gemm_half_q_half_gptq_4bit_kernelILb1ELi4EEEvPK6__halfPKjS6_S4_PS2_iiiibPKi
	.globl	_ZN4vllm4gptq33gemm_half_q_half_gptq_4bit_kernelILb1ELi4EEEvPK6__halfPKjS6_S4_PS2_iiiibPKi
	.p2align	8
	.type	_ZN4vllm4gptq33gemm_half_q_half_gptq_4bit_kernelILb1ELi4EEEvPK6__halfPKjS6_S4_PS2_iiiibPKi,@function
_ZN4vllm4gptq33gemm_half_q_half_gptq_4bit_kernelILb1ELi4EEEvPK6__halfPKjS6_S4_PS2_iiiibPKi: ; @_ZN4vllm4gptq33gemm_half_q_half_gptq_4bit_kernelILb1ELi4EEEvPK6__halfPKjS6_S4_PS2_iiiibPKi
; %bb.0:
	s_load_dwordx8 s[8:15], s[0:1], 0x8
	s_load_dwordx4 s[16:19], s[0:1], 0x2c
	s_lshl_b32 s25, s4, 7
	s_lshl_b32 s24, s3, 2
	s_add_i32 s3, s25, 0x80
	v_cvt_f64_u32_e32 v[2:3], s3
	s_waitcnt lgkmcnt(0)
	v_cvt_f64_i32_e32 v[4:5], s17
	v_min_f64 v[2:3], v[2:3], v[4:5]
	v_cvt_i32_f64_e32 v1, v[2:3]
	v_add_u32_e32 v2, s25, v0
	v_readfirstlane_b32 s26, v1
	v_cmp_lt_u32_e32 vcc, v2, v1
	s_and_saveexec_b64 s[4:5], vcc
	s_cbranch_execz .LBB29_10
; %bb.1:
	s_load_dwordx2 s[22:23], s[0:1], 0x40
	s_load_dwordx2 s[6:7], s[0:1], 0x0
	v_mov_b32_e32 v3, 0
	v_mov_b64_e32 v[6:7], v[2:3]
	s_waitcnt lgkmcnt(0)
	s_cmp_lg_u64 s[22:23], 0
	s_cselect_b64 s[20:21], -1, 0
	s_cmp_eq_u64 s[22:23], 0
	v_lshl_add_u64 v[4:5], v[2:3], 2, s[22:23]
	s_cbranch_scc1 .LBB29_3
; %bb.2:
	global_load_dword v6, v[4:5], off
	s_waitcnt vmcnt(0)
	v_ashrrev_i32_e32 v7, 31, v6
.LBB29_3:
	s_mul_i32 s22, s24, s17
	s_ashr_i32 s23, s22, 31
	s_lshl_b64 s[0:1], s[22:23], 1
	s_add_u32 s0, s6, s0
	s_addc_u32 s1, s7, s1
	v_lshl_add_u64 v[6:7], v[6:7], 1, s[0:1]
	global_load_ushort v6, v[6:7], off
	v_lshlrev_b32_e32 v1, 1, v0
	v_cndmask_b32_e64 v7, 0, 1, s[20:21]
	v_cmp_ne_u32_e64 s[0:1], 1, v7
	s_andn2_b64 vcc, exec, s[20:21]
	s_waitcnt vmcnt(0)
	ds_write_b16 v1, v6
	v_mov_b64_e32 v[6:7], v[2:3]
	s_cbranch_vccnz .LBB29_5
; %bb.4:
	global_load_dword v6, v[4:5], off
	s_waitcnt vmcnt(0)
	v_ashrrev_i32_e32 v7, 31, v6
.LBB29_5:
	s_add_i32 s20, s22, s17
	s_ashr_i32 s21, s20, 31
	s_lshl_b64 s[22:23], s[20:21], 1
	s_add_u32 s22, s6, s22
	s_addc_u32 s23, s7, s23
	v_lshl_add_u64 v[6:7], v[6:7], 1, s[22:23]
	global_load_ushort v6, v[6:7], off
	s_and_b64 vcc, exec, s[0:1]
	s_waitcnt vmcnt(0)
	ds_write_b16 v1, v6 offset:256
	v_mov_b64_e32 v[6:7], v[2:3]
	s_cbranch_vccnz .LBB29_7
; %bb.6:
	global_load_dword v6, v[4:5], off
	s_waitcnt vmcnt(0)
	v_ashrrev_i32_e32 v7, 31, v6
.LBB29_7:
	s_add_i32 s20, s20, s17
	s_ashr_i32 s21, s20, 31
	s_lshl_b64 s[22:23], s[20:21], 1
	s_add_u32 s22, s6, s22
	s_addc_u32 s23, s7, s23
	v_lshl_add_u64 v[6:7], v[6:7], 1, s[22:23]
	global_load_ushort v6, v[6:7], off
	s_and_b64 vcc, exec, s[0:1]
	s_waitcnt vmcnt(0)
	ds_write_b16 v1, v6 offset:512
	s_cbranch_vccnz .LBB29_9
; %bb.8:
	global_load_dword v2, v[4:5], off
	s_waitcnt vmcnt(0)
	v_ashrrev_i32_e32 v3, 31, v2
.LBB29_9:
	s_add_i32 s0, s20, s17
	s_ashr_i32 s1, s0, 31
	s_lshl_b64 s[0:1], s[0:1], 1
	s_add_u32 s0, s6, s0
	s_addc_u32 s1, s7, s1
	v_lshl_add_u64 v[2:3], v[2:3], 1, s[0:1]
	global_load_ushort v2, v[2:3], off
	s_waitcnt vmcnt(0)
	ds_write_b16 v1, v2 offset:768
.LBB29_10:
	s_or_b64 exec, exec, s[4:5]
	v_lshlrev_b32_e32 v1, 2, v0
	v_lshl_add_u32 v2, s2, 9, v1
	v_cmp_gt_i32_e32 vcc, s16, v2
	s_and_saveexec_b64 s[0:1], vcc
	s_cbranch_execz .LBB29_32
; %bb.11:
	s_abs_i32 s0, s18
	v_cvt_f32_u32_e32 v1, s0
	v_mov_b32_e32 v5, 0
	s_cmp_ge_i32 s25, s26
	v_mov_b32_e32 v4, v5
	v_rcp_iflag_f32_e32 v1, v1
	v_mov_b32_e32 v34, v5
	v_mov_b32_e32 v11, v5
	;; [unrolled: 1-line block ×3, first 2 shown]
	v_mul_f32_e32 v1, 0x4f7ffffe, v1
	v_cvt_u32_f32_e32 v1, v1
	v_mov_b32_e32 v33, v5
	v_mov_b32_e32 v36, v5
	;; [unrolled: 1-line block ×3, first 2 shown]
	v_readfirstlane_b32 s1, v1
	v_mov_b32_e32 v39, v5
	v_mov_b32_e32 v38, v5
	;; [unrolled: 1-line block ×8, first 2 shown]
	s_waitcnt lgkmcnt(0)
	s_barrier
	s_cbranch_scc1 .LBB29_16
; %bb.12:
	s_sub_i32 s5, 0, s0
	s_mul_i32 s5, s5, s1
	s_mul_hi_u32 s5, s1, s5
	s_abs_i32 s4, s17
	s_add_i32 s1, s1, s5
	s_ashr_i32 s2, s17, 31
	s_ashr_i32 s3, s18, 31
	s_mul_hi_u32 s1, s4, s1
	s_xor_b32 s2, s2, s3
	s_mul_i32 s3, s1, s0
	s_sub_i32 s3, s4, s3
	s_add_i32 s4, s1, 1
	s_sub_i32 s5, s3, s0
	s_cmp_ge_u32 s3, s0
	s_cselect_b32 s1, s4, s1
	s_cselect_b32 s3, s5, s3
	s_add_i32 s4, s1, 1
	s_cmp_ge_u32 s3, s0
	s_cselect_b32 s0, s4, s1
	s_xor_b32 s0, s0, s2
	s_sub_i32 s4, s0, s2
	v_cvt_f32_u32_e32 v1, s4
	s_bitcmp1_b32 s19, 0
	s_cselect_b64 s[0:1], -1, 0
	s_sub_i32 s2, 0, s4
	v_rcp_iflag_f32_e32 v1, v1
	s_xor_b64 s[0:1], s[0:1], -1
	v_ashrrev_i32_e32 v3, 31, v2
	v_lshrrev_b32_e32 v4, 29, v3
	v_mul_f32_e32 v1, 0x4f7ffffe, v1
	v_cvt_u32_f32_e32 v1, v1
	v_add_u32_e32 v4, v2, v4
	v_ashrrev_i32_e32 v37, 3, v4
	v_cndmask_b32_e64 v48, 0, 1, s[0:1]
	v_readfirstlane_b32 s3, v1
	s_mul_i32 s2, s2, s3
	s_mul_hi_u32 s2, s3, s2
	s_add_i32 s3, s3, s2
	s_mul_hi_u32 s2, s25, s3
	s_mul_i32 s3, s2, s4
	s_sub_i32 s3, s25, s3
	s_add_i32 s5, s2, 1
	s_sub_i32 s6, s3, s4
	s_cmp_ge_u32 s3, s4
	s_cselect_b32 s2, s5, s2
	s_cselect_b32 s3, s6, s3
	s_add_i32 s5, s2, 1
	s_cmp_ge_u32 s3, s4
	s_cselect_b32 s5, s5, s2
	s_mul_i32 s2, s5, s16
	s_ashr_i32 s3, s2, 31
	s_lshr_b32 s3, s3, 29
	v_add_u32_e32 v4, s2, v2
	s_add_i32 s3, s2, s3
	v_ashrrev_i32_e32 v5, 31, v4
	s_ashr_i32 s3, s3, 3
	v_lshl_add_u64 v[4:5], v[4:5], 1, s[12:13]
	global_load_dwordx2 v[6:7], v[4:5], off
	v_add_u32_e32 v4, s3, v37
	v_ashrrev_i32_e32 v5, 31, v4
	v_lshl_add_u64 v[4:5], v[4:5], 2, s[10:11]
	global_load_dword v8, v[4:5], off
	s_lshr_b32 s0, s25, 3
	s_mul_i32 s0, s16, s0
	s_ashr_i32 s1, s0, 31
	s_lshl_b64 s[0:1], s[0:1], 2
	s_add_u32 s0, s8, s0
	v_lshlrev_b32_e32 v9, 4, v0
	s_addc_u32 s1, s9, s1
	v_lshl_add_u64 v[0:1], v[2:3], 2, s[0:1]
	v_and_b32_e32 v47, 16, v9
	s_mov_b32 s18, 0x10001
	v_mov_b32_e32 v46, 0xe400e400
	s_mov_b32 s7, 0xd400
	v_mov_b32_e32 v4, 0
	s_ashr_i32 s17, s16, 31
	s_mov_b32 s6, 0
	s_movk_i32 s19, 0x2c00
	v_mov_b32_e32 v5, v4
	v_mov_b32_e32 v44, v4
	;; [unrolled: 1-line block ×14, first 2 shown]
	s_add_i32 s8, s4, s25
	s_lshl_b64 s[0:1], s[16:17], 4
	s_lshl_b64 s[2:3], s[16:17], 2
	v_mov_b32_e32 v34, v4
	s_waitcnt vmcnt(1)
	v_cvt_f32_f16_e32 v49, v6
	v_cvt_f32_f16_sdwa v50, v6 dst_sel:DWORD dst_unused:UNUSED_PAD src0_sel:WORD_1
	v_cvt_f32_f16_e32 v6, v7
	v_cvt_f32_f16_sdwa v7, v7 dst_sel:DWORD dst_unused:UNUSED_PAD src0_sel:WORD_1
	s_waitcnt vmcnt(0)
	v_lshrrev_b32_e32 v3, v9, v8
	v_lshrrev_b32_e32 v8, 12, v3
	;; [unrolled: 1-line block ×4, first 2 shown]
	v_and_b32_e32 v3, 15, v3
	v_and_b32_e32 v8, 15, v8
	;; [unrolled: 1-line block ×4, first 2 shown]
	v_add_u32_e32 v3, v3, v48
	v_add_u32_e32 v9, v9, v48
	;; [unrolled: 1-line block ×4, first 2 shown]
	v_cvt_f32_ubyte0_e32 v12, v3
	v_mad_u32_u24 v51, v3, s18, v46
	v_cvt_f32_ubyte0_e32 v3, v8
	v_cvt_f32_ubyte0_e32 v13, v9
	v_mad_u32_u24 v54, v8, s18, v46
	v_cvt_f32_ubyte0_e32 v8, v10
	v_cvt_pk_f16_f32 v3, v13, v3
	v_cvt_pk_f16_f32 v8, v12, v8
	v_pk_add_f16 v3, v3, s7 op_sel_hi:[1,0] neg_lo:[1,0] neg_hi:[1,0]
	v_pk_add_f16 v12, v8, s7 op_sel_hi:[1,0] neg_lo:[1,0] neg_hi:[1,0]
	v_mad_u32_u24 v52, v9, s18, v46
	v_mad_u32_u24 v53, v10, s18, v46
	v_mul_u32_u24_sdwa v10, v3, s18 dst_sel:DWORD dst_unused:UNUSED_PAD src0_sel:WORD_0 src1_sel:DWORD
	v_mul_u32_u24_sdwa v9, v3, s18 dst_sel:DWORD dst_unused:UNUSED_PAD src0_sel:WORD_1 src1_sel:DWORD
	v_mul_u32_u24_sdwa v8, v12, s18 dst_sel:DWORD dst_unused:UNUSED_PAD src0_sel:WORD_0 src1_sel:DWORD
	v_mul_u32_u24_sdwa v3, v12, s18 dst_sel:DWORD dst_unused:UNUSED_PAD src0_sel:WORD_1 src1_sel:DWORD
	s_branch .LBB29_14
.LBB29_13:                              ;   in Loop: Header=BB29_14 Depth=1
	global_load_dwordx4 v[22:25], v[0:1], off
	s_add_i32 s25, s25, 32
	s_waitcnt vmcnt(0)
	v_lshrrev_b32_e32 v14, 8, v22
	v_and_b32_e32 v12, 0xf000f, v22
	v_and_b32_e32 v13, 0xf000f0, v22
	;; [unrolled: 1-line block ×4, first 2 shown]
	v_lshrrev_b32_e32 v18, 8, v23
	v_or_b32_e32 v12, 0x64006400, v12
	v_or_b32_e32 v13, 0x64006400, v13
	;; [unrolled: 1-line block ×4, first 2 shown]
	v_and_b32_e32 v19, 0xf000f, v18
	v_and_b32_e32 v18, 0xf000f0, v18
	v_lshrrev_b32_e32 v22, 8, v24
	v_pk_add_f16 v14, v51, v12
	v_pk_fma_f16 v15, v13, s19, v8 op_sel_hi:[1,0,1]
	v_pk_add_f16 v12, v51, v16
	v_pk_fma_f16 v13, v17, s19, v8 op_sel_hi:[1,0,1]
	v_and_b32_e32 v16, 0xf000f, v23
	v_and_b32_e32 v17, 0xf000f0, v23
	v_or_b32_e32 v19, 0x64006400, v19
	v_or_b32_e32 v20, 0x64006400, v18
	v_and_b32_e32 v23, 0xf000f, v22
	v_and_b32_e32 v22, 0xf000f0, v22
	v_pk_add_f16 v18, v53, v19
	v_pk_fma_f16 v19, v20, s19, v3 op_sel_hi:[1,0,1]
	v_and_b32_e32 v20, 0xf000f, v24
	v_and_b32_e32 v21, 0xf000f0, v24
	v_or_b32_e32 v23, 0x64006400, v23
	v_or_b32_e32 v24, 0x64006400, v22
	v_pk_add_f16 v22, v52, v23
	v_pk_fma_f16 v23, v24, s19, v10 op_sel_hi:[1,0,1]
	v_and_b32_e32 v24, 0xf000f, v25
	v_and_b32_e32 v26, 0xf000f0, v25
	v_lshrrev_b32_e32 v25, 8, v25
	v_and_b32_e32 v27, 0xf000f, v25
	v_and_b32_e32 v25, 0xf000f0, v25
	v_or_b32_e32 v26, 0x64006400, v26
	v_or_b32_e32 v27, 0x64006400, v27
	;; [unrolled: 1-line block ×3, first 2 shown]
	v_pk_fma_f16 v25, v26, s19, v9 op_sel_hi:[1,0,1]
	v_pk_add_f16 v26, v54, v27
	v_pk_fma_f16 v27, v28, s19, v9 op_sel_hi:[1,0,1]
	v_mov_b32_e32 v28, s6
	ds_read2_b32 v[30:31], v28 offset1:1
	ds_read2_b32 v[56:57], v28 offset0:2 offset1:3
	v_or_b32_e32 v16, 0x64006400, v16
	v_or_b32_e32 v17, 0x64006400, v17
	v_pk_add_f16 v16, v53, v16
	s_waitcnt lgkmcnt(1)
	v_pk_fma_f16 v29, v14, v30, 0
	v_pk_fma_f16 v17, v17, s19, v3 op_sel_hi:[1,0,1]
	v_pk_fma_f16 v29, v15, v31, v29
	v_or_b32_e32 v20, 0x64006400, v20
	s_waitcnt lgkmcnt(0)
	v_pk_fma_f16 v29, v12, v56, v29
	v_or_b32_e32 v21, 0x64006400, v21
	v_pk_fma_f16 v29, v13, v57, v29
	v_pk_add_f16 v20, v52, v20
	v_cvt_f32_f16_e32 v55, v29
	v_cvt_f32_f16_sdwa v29, v29 dst_sel:DWORD dst_unused:UNUSED_PAD src0_sel:WORD_1
	v_pk_fma_f16 v21, v21, s19, v10 op_sel_hi:[1,0,1]
	v_or_b32_e32 v24, 0x64006400, v24
	v_pk_add_f16 v24, v54, v24
	v_add_f32_e32 v29, v29, v55
	v_fmac_f32_e32 v44, v29, v49
	v_pk_fma_f16 v29, v16, v30, 0
	s_add_i32 s6, s6, 64
	v_pk_fma_f16 v29, v17, v31, v29
	s_cmp_ge_i32 s25, s26
	v_pk_fma_f16 v29, v18, v56, v29
	s_nop 0
	v_pk_fma_f16 v29, v19, v57, v29
	s_nop 0
	v_cvt_f32_f16_e32 v55, v29
	v_cvt_f32_f16_sdwa v29, v29 dst_sel:DWORD dst_unused:UNUSED_PAD src0_sel:WORD_1
	v_add_f32_e32 v29, v29, v55
	v_fmac_f32_e32 v45, v29, v50
	v_pk_fma_f16 v29, v20, v30, 0
	s_nop 0
	v_pk_fma_f16 v29, v21, v31, v29
	s_nop 0
	v_pk_fma_f16 v29, v22, v56, v29
	s_nop 0
	v_pk_fma_f16 v29, v23, v57, v29
	s_nop 0
	v_cvt_f32_f16_e32 v55, v29
	v_cvt_f32_f16_sdwa v29, v29 dst_sel:DWORD dst_unused:UNUSED_PAD src0_sel:WORD_1
	v_add_f32_e32 v29, v29, v55
	v_fmac_f32_e32 v42, v29, v6
	v_pk_fma_f16 v29, v24, v30, 0
	s_nop 0
	v_pk_fma_f16 v29, v25, v31, v29
	s_nop 0
	v_pk_fma_f16 v29, v26, v56, v29
	s_nop 0
	v_pk_fma_f16 v29, v27, v57, v29
	ds_read2_b32 v[56:57], v28 offset0:66 offset1:67
	v_cvt_f32_f16_e32 v30, v29
	v_cvt_f32_f16_sdwa v29, v29 dst_sel:DWORD dst_unused:UNUSED_PAD src0_sel:WORD_1
	v_add_f32_e32 v29, v29, v30
	ds_read2_b32 v[30:31], v28 offset0:64 offset1:65
	v_fmac_f32_e32 v43, v29, v7
	s_waitcnt lgkmcnt(0)
	v_pk_fma_f16 v29, v14, v30, 0
	s_nop 0
	v_pk_fma_f16 v29, v15, v31, v29
	s_nop 0
	v_pk_fma_f16 v29, v12, v56, v29
	s_nop 0
	v_pk_fma_f16 v29, v13, v57, v29
	s_nop 0
	v_cvt_f32_f16_e32 v55, v29
	v_cvt_f32_f16_sdwa v29, v29 dst_sel:DWORD dst_unused:UNUSED_PAD src0_sel:WORD_1
	v_add_f32_e32 v29, v29, v55
	v_fmac_f32_e32 v40, v29, v49
	v_pk_fma_f16 v29, v16, v30, 0
	s_nop 0
	v_pk_fma_f16 v29, v17, v31, v29
	s_nop 0
	v_pk_fma_f16 v29, v18, v56, v29
	s_nop 0
	v_pk_fma_f16 v29, v19, v57, v29
	s_nop 0
	v_cvt_f32_f16_e32 v55, v29
	v_cvt_f32_f16_sdwa v29, v29 dst_sel:DWORD dst_unused:UNUSED_PAD src0_sel:WORD_1
	v_add_f32_e32 v29, v29, v55
	v_fmac_f32_e32 v41, v29, v50
	v_pk_fma_f16 v29, v20, v30, 0
	s_nop 0
	v_pk_fma_f16 v29, v21, v31, v29
	s_nop 0
	v_pk_fma_f16 v29, v22, v56, v29
	s_nop 0
	v_pk_fma_f16 v29, v23, v57, v29
	s_nop 0
	v_cvt_f32_f16_e32 v55, v29
	v_cvt_f32_f16_sdwa v29, v29 dst_sel:DWORD dst_unused:UNUSED_PAD src0_sel:WORD_1
	v_add_f32_e32 v29, v29, v55
	v_fmac_f32_e32 v38, v29, v6
	v_pk_fma_f16 v29, v24, v30, 0
	s_nop 0
	v_pk_fma_f16 v29, v25, v31, v29
	s_nop 0
	v_pk_fma_f16 v29, v26, v56, v29
	s_nop 0
	v_pk_fma_f16 v29, v27, v57, v29
	ds_read2_b32 v[56:57], v28 offset0:130 offset1:131
	v_cvt_f32_f16_e32 v30, v29
	v_cvt_f32_f16_sdwa v29, v29 dst_sel:DWORD dst_unused:UNUSED_PAD src0_sel:WORD_1
	v_add_f32_e32 v29, v29, v30
	ds_read2_b32 v[30:31], v28 offset0:128 offset1:129
	v_fmac_f32_e32 v39, v29, v7
	s_waitcnt lgkmcnt(0)
	v_pk_fma_f16 v29, v14, v30, 0
	s_nop 0
	v_pk_fma_f16 v29, v15, v31, v29
	s_nop 0
	v_pk_fma_f16 v29, v12, v56, v29
	s_nop 0
	v_pk_fma_f16 v29, v13, v57, v29
	s_nop 0
	v_cvt_f32_f16_e32 v55, v29
	v_cvt_f32_f16_sdwa v29, v29 dst_sel:DWORD dst_unused:UNUSED_PAD src0_sel:WORD_1
	v_add_f32_e32 v29, v29, v55
	v_fmac_f32_e32 v35, v29, v49
	v_pk_fma_f16 v29, v16, v30, 0
	s_nop 0
	v_pk_fma_f16 v29, v17, v31, v29
	s_nop 0
	v_pk_fma_f16 v29, v18, v56, v29
	s_nop 0
	v_pk_fma_f16 v29, v19, v57, v29
	s_nop 0
	v_cvt_f32_f16_e32 v55, v29
	v_cvt_f32_f16_sdwa v29, v29 dst_sel:DWORD dst_unused:UNUSED_PAD src0_sel:WORD_1
	v_add_f32_e32 v29, v29, v55
	v_fmac_f32_e32 v36, v29, v50
	v_pk_fma_f16 v29, v20, v30, 0
	s_nop 0
	v_pk_fma_f16 v29, v21, v31, v29
	s_nop 0
	v_pk_fma_f16 v29, v22, v56, v29
	s_nop 0
	v_pk_fma_f16 v29, v23, v57, v29
	s_nop 0
	v_cvt_f32_f16_e32 v55, v29
	v_cvt_f32_f16_sdwa v29, v29 dst_sel:DWORD dst_unused:UNUSED_PAD src0_sel:WORD_1
	v_add_f32_e32 v29, v29, v55
	v_fmac_f32_e32 v33, v29, v6
	v_pk_fma_f16 v29, v24, v30, 0
	s_nop 0
	v_pk_fma_f16 v29, v25, v31, v29
	s_nop 0
	v_pk_fma_f16 v29, v26, v56, v29
	s_nop 0
	v_pk_fma_f16 v29, v27, v57, v29
	ds_read2_b32 v[56:57], v28 offset0:194 offset1:195
	v_cvt_f32_f16_e32 v30, v29
	v_cvt_f32_f16_sdwa v29, v29 dst_sel:DWORD dst_unused:UNUSED_PAD src0_sel:WORD_1
	v_add_f32_e32 v29, v29, v30
	ds_read2_b32 v[30:31], v28 offset0:192 offset1:193
	v_fmac_f32_e32 v32, v29, v7
	s_waitcnt lgkmcnt(0)
	v_pk_fma_f16 v14, v14, v30, 0
	s_nop 0
	v_pk_fma_f16 v14, v15, v31, v14
	s_nop 0
	v_pk_fma_f16 v12, v12, v56, v14
	s_nop 0
	v_pk_fma_f16 v12, v13, v57, v12
	s_nop 0
	v_cvt_f32_f16_e32 v13, v12
	v_cvt_f32_f16_sdwa v12, v12 dst_sel:DWORD dst_unused:UNUSED_PAD src0_sel:WORD_1
	v_add_f32_e32 v12, v12, v13
	v_fmac_f32_e32 v11, v12, v49
	v_pk_fma_f16 v12, v16, v30, 0
	s_nop 0
	v_pk_fma_f16 v12, v17, v31, v12
	s_nop 0
	v_pk_fma_f16 v12, v18, v56, v12
	s_nop 0
	v_pk_fma_f16 v12, v19, v57, v12
	s_nop 0
	v_cvt_f32_f16_e32 v13, v12
	v_cvt_f32_f16_sdwa v12, v12 dst_sel:DWORD dst_unused:UNUSED_PAD src0_sel:WORD_1
	v_add_f32_e32 v12, v12, v13
	v_fmac_f32_e32 v34, v12, v50
	v_pk_fma_f16 v12, v20, v30, 0
	s_nop 0
	v_pk_fma_f16 v12, v21, v31, v12
	v_lshl_add_u64 v[20:21], v[0:1], 0, s[2:3]
	global_load_dwordx4 v[16:19], v[20:21], off
	v_pk_fma_f16 v12, v22, v56, v12
	v_lshl_add_u64 v[0:1], v[0:1], 0, s[0:1]
	v_pk_fma_f16 v13, v23, v57, v12
	s_waitcnt vmcnt(0)
	v_and_b32_e32 v22, 0xf000f, v16
	v_and_b32_e32 v23, 0xf000f0, v16
	v_lshrrev_b32_e32 v16, 8, v16
	v_cvt_f32_f16_e32 v12, v13
	v_cvt_f32_f16_sdwa v14, v13 dst_sel:DWORD dst_unused:UNUSED_PAD src0_sel:WORD_1
	v_pk_fma_f16 v13, v24, v30, 0
	v_and_b32_e32 v24, 0xf000f, v16
	v_and_b32_e32 v16, 0xf000f0, v16
	v_or_b32_e32 v22, 0x64006400, v22
	v_or_b32_e32 v16, 0x64006400, v16
	v_pk_fma_f16 v13, v25, v31, v13
	v_or_b32_e32 v23, 0x64006400, v23
	v_pk_add_f16 v25, v51, v22
	v_pk_fma_f16 v29, v16, s19, v8 op_sel_hi:[1,0,1]
	v_and_b32_e32 v16, 0xf000f, v17
	v_and_b32_e32 v22, 0xf000f0, v17
	v_lshrrev_b32_e32 v17, 8, v17
	v_pk_fma_f16 v13, v26, v56, v13
	v_pk_fma_f16 v26, v23, s19, v8 op_sel_hi:[1,0,1]
	v_and_b32_e32 v23, 0xf000f, v17
	v_and_b32_e32 v17, 0xf000f0, v17
	v_or_b32_e32 v16, 0x64006400, v16
	v_or_b32_e32 v17, 0x64006400, v17
	v_pk_add_f16 v30, v53, v16
	v_pk_fma_f16 v56, v17, s19, v3 op_sel_hi:[1,0,1]
	v_and_b32_e32 v16, 0xf000f, v18
	v_and_b32_e32 v17, 0xf000f0, v18
	v_or_b32_e32 v16, 0x64006400, v16
	v_or_b32_e32 v17, 0x64006400, v17
	v_pk_fma_f16 v13, v27, v57, v13
	v_pk_add_f16 v57, v52, v16
	v_pk_fma_f16 v58, v17, s19, v10 op_sel_hi:[1,0,1]
	v_and_b32_e32 v16, 0xf000f, v19
	v_and_b32_e32 v17, 0xf000f0, v19
	v_or_b32_e32 v22, 0x64006400, v22
	v_lshrrev_b32_e32 v18, 8, v18
	v_or_b32_e32 v16, 0x64006400, v16
	v_or_b32_e32 v17, 0x64006400, v17
	v_pk_fma_f16 v31, v22, s19, v3 op_sel_hi:[1,0,1]
	v_and_b32_e32 v22, 0xf000f, v18
	v_and_b32_e32 v18, 0xf000f0, v18
	v_pk_add_f16 v61, v54, v16
	v_pk_fma_f16 v62, v17, s19, v9 op_sel_hi:[1,0,1]
	ds_read2_b32 v[16:17], v28 offset0:4 offset1:5
	v_or_b32_e32 v18, 0x64006400, v18
	v_pk_fma_f16 v60, v18, s19, v10 op_sel_hi:[1,0,1]
	v_lshrrev_b32_e32 v18, 8, v19
	v_and_b32_e32 v19, 0xf000f, v18
	v_and_b32_e32 v18, 0xf000f0, v18
	v_or_b32_e32 v18, 0x64006400, v18
	v_or_b32_e32 v22, 0x64006400, v22
	;; [unrolled: 1-line block ×3, first 2 shown]
	v_pk_fma_f16 v64, v18, s19, v9 op_sel_hi:[1,0,1]
	s_waitcnt lgkmcnt(0)
	v_pk_fma_f16 v18, v25, v16, 0
	v_pk_add_f16 v59, v52, v22
	v_pk_add_f16 v63, v54, v19
	v_pk_fma_f16 v22, v26, v17, v18
	ds_read2_b32 v[18:19], v28 offset0:6 offset1:7
	v_or_b32_e32 v24, 0x64006400, v24
	v_pk_add_f16 v27, v51, v24
	v_or_b32_e32 v23, 0x64006400, v23
	v_pk_add_f16 v55, v53, v23
	s_waitcnt lgkmcnt(0)
	v_pk_fma_f16 v22, v27, v18, v22
	v_cvt_f32_f16_sdwa v15, v13 dst_sel:DWORD dst_unused:UNUSED_PAD src0_sel:WORD_1
	v_pk_fma_f16 v22, v29, v19, v22
	v_cvt_f32_f16_e32 v13, v13
	v_cvt_f32_f16_e32 v23, v22
	v_cvt_f32_f16_sdwa v22, v22 dst_sel:DWORD dst_unused:UNUSED_PAD src0_sel:WORD_1
	v_pk_add_f32 v[12:13], v[12:13], v[14:15]
	s_nop 0
	v_pk_fma_f32 v[4:5], v[12:13], v[6:7], v[4:5]
	v_add_f32_e32 v22, v22, v23
	v_fmac_f32_e32 v44, v22, v49
	v_pk_fma_f16 v22, v30, v16, 0
	s_nop 0
	v_pk_fma_f16 v22, v31, v17, v22
	s_nop 0
	;; [unrolled: 2-line block ×4, first 2 shown]
	v_cvt_f32_f16_e32 v23, v22
	v_cvt_f32_f16_sdwa v22, v22 dst_sel:DWORD dst_unused:UNUSED_PAD src0_sel:WORD_1
	v_add_f32_e32 v22, v22, v23
	v_fmac_f32_e32 v45, v22, v50
	v_pk_fma_f16 v22, v57, v16, 0
	v_pk_fma_f16 v16, v61, v16, 0
	;; [unrolled: 1-line block ×8, first 2 shown]
	v_cvt_f32_f16_e32 v23, v22
	v_cvt_f32_f16_e32 v17, v16
	v_cvt_f32_f16_sdwa v16, v16 dst_sel:DWORD dst_unused:UNUSED_PAD src0_sel:WORD_1
	v_cvt_f32_f16_sdwa v22, v22 dst_sel:DWORD dst_unused:UNUSED_PAD src0_sel:WORD_1
	v_add_f32_e32 v16, v16, v17
	v_fmac_f32_e32 v43, v16, v7
	ds_read2_b32 v[16:17], v28 offset0:68 offset1:69
	v_add_f32_e32 v22, v22, v23
	v_fmac_f32_e32 v42, v22, v6
	s_waitcnt lgkmcnt(0)
	v_pk_fma_f16 v18, v25, v16, 0
	s_nop 0
	v_pk_fma_f16 v22, v26, v17, v18
	ds_read2_b32 v[18:19], v28 offset0:70 offset1:71
	s_waitcnt lgkmcnt(0)
	v_pk_fma_f16 v22, v27, v18, v22
	s_nop 0
	v_pk_fma_f16 v22, v29, v19, v22
	s_nop 0
	v_cvt_f32_f16_e32 v23, v22
	v_cvt_f32_f16_sdwa v22, v22 dst_sel:DWORD dst_unused:UNUSED_PAD src0_sel:WORD_1
	v_add_f32_e32 v22, v22, v23
	v_fmac_f32_e32 v40, v22, v49
	v_pk_fma_f16 v22, v30, v16, 0
	s_nop 0
	v_pk_fma_f16 v22, v31, v17, v22
	s_nop 0
	;; [unrolled: 2-line block ×4, first 2 shown]
	v_cvt_f32_f16_e32 v23, v22
	v_cvt_f32_f16_sdwa v22, v22 dst_sel:DWORD dst_unused:UNUSED_PAD src0_sel:WORD_1
	v_add_f32_e32 v22, v22, v23
	v_fmac_f32_e32 v41, v22, v50
	v_pk_fma_f16 v22, v57, v16, 0
	v_pk_fma_f16 v16, v61, v16, 0
	;; [unrolled: 1-line block ×8, first 2 shown]
	v_cvt_f32_f16_e32 v23, v22
	v_cvt_f32_f16_e32 v17, v16
	v_cvt_f32_f16_sdwa v16, v16 dst_sel:DWORD dst_unused:UNUSED_PAD src0_sel:WORD_1
	v_cvt_f32_f16_sdwa v22, v22 dst_sel:DWORD dst_unused:UNUSED_PAD src0_sel:WORD_1
	v_add_f32_e32 v16, v16, v17
	v_fmac_f32_e32 v39, v16, v7
	ds_read2_b32 v[16:17], v28 offset0:132 offset1:133
	v_add_f32_e32 v22, v22, v23
	v_fmac_f32_e32 v38, v22, v6
	s_waitcnt lgkmcnt(0)
	v_pk_fma_f16 v18, v25, v16, 0
	s_nop 0
	v_pk_fma_f16 v22, v26, v17, v18
	ds_read2_b32 v[18:19], v28 offset0:134 offset1:135
	s_waitcnt lgkmcnt(0)
	v_pk_fma_f16 v22, v27, v18, v22
	s_nop 0
	v_pk_fma_f16 v22, v29, v19, v22
	s_nop 0
	v_cvt_f32_f16_e32 v23, v22
	v_cvt_f32_f16_sdwa v22, v22 dst_sel:DWORD dst_unused:UNUSED_PAD src0_sel:WORD_1
	v_add_f32_e32 v22, v22, v23
	v_fmac_f32_e32 v35, v22, v49
	v_pk_fma_f16 v22, v30, v16, 0
	s_nop 0
	v_pk_fma_f16 v22, v31, v17, v22
	s_nop 0
	;; [unrolled: 2-line block ×4, first 2 shown]
	v_cvt_f32_f16_e32 v23, v22
	v_cvt_f32_f16_sdwa v22, v22 dst_sel:DWORD dst_unused:UNUSED_PAD src0_sel:WORD_1
	v_add_f32_e32 v22, v22, v23
	v_fmac_f32_e32 v36, v22, v50
	v_pk_fma_f16 v22, v57, v16, 0
	v_pk_fma_f16 v16, v61, v16, 0
	;; [unrolled: 1-line block ×8, first 2 shown]
	v_cvt_f32_f16_e32 v23, v22
	v_cvt_f32_f16_sdwa v22, v22 dst_sel:DWORD dst_unused:UNUSED_PAD src0_sel:WORD_1
	v_cvt_f32_f16_e32 v17, v16
	v_cvt_f32_f16_sdwa v16, v16 dst_sel:DWORD dst_unused:UNUSED_PAD src0_sel:WORD_1
	v_add_f32_e32 v22, v22, v23
	v_fmac_f32_e32 v33, v22, v6
	ds_read2_b32 v[22:23], v28 offset0:196 offset1:197
	v_add_f32_e32 v16, v16, v17
	v_fmac_f32_e32 v32, v16, v7
	s_waitcnt lgkmcnt(0)
	v_pk_fma_f16 v16, v25, v22, 0
	ds_read2_b32 v[24:25], v28 offset0:198 offset1:199
	v_pk_fma_f16 v16, v26, v23, v16
	s_waitcnt lgkmcnt(0)
	v_pk_fma_f16 v16, v27, v24, v16
	s_nop 0
	v_pk_fma_f16 v16, v29, v25, v16
	s_nop 0
	v_cvt_f32_f16_e32 v17, v16
	v_cvt_f32_f16_sdwa v16, v16 dst_sel:DWORD dst_unused:UNUSED_PAD src0_sel:WORD_1
	v_add_f32_e32 v16, v16, v17
	v_fmac_f32_e32 v11, v16, v49
	v_pk_fma_f16 v16, v30, v22, 0
	s_nop 0
	v_pk_fma_f16 v16, v31, v23, v16
	s_nop 0
	;; [unrolled: 2-line block ×4, first 2 shown]
	v_cvt_f32_f16_e32 v17, v16
	v_cvt_f32_f16_sdwa v16, v16 dst_sel:DWORD dst_unused:UNUSED_PAD src0_sel:WORD_1
	v_add_f32_e32 v16, v16, v17
	v_fmac_f32_e32 v34, v16, v50
	v_pk_fma_f16 v16, v57, v22, 0
	s_nop 0
	v_pk_fma_f16 v16, v58, v23, v16
	s_nop 0
	;; [unrolled: 2-line block ×4, first 2 shown]
	v_cvt_f32_f16_e32 v16, v17
	v_cvt_f32_f16_sdwa v18, v17 dst_sel:DWORD dst_unused:UNUSED_PAD src0_sel:WORD_1
	v_pk_fma_f16 v17, v61, v22, 0
	s_nop 0
	v_pk_fma_f16 v17, v62, v23, v17
	s_nop 0
	;; [unrolled: 2-line block ×3, first 2 shown]
	v_pk_fma_f16 v17, v64, v25, v17
	v_lshl_add_u64 v[24:25], v[20:21], 0, s[2:3]
	global_load_dwordx4 v[20:23], v[24:25], off
	v_lshl_add_u64 v[24:25], v[24:25], 0, s[2:3]
	v_cvt_f32_f16_sdwa v19, v17 dst_sel:DWORD dst_unused:UNUSED_PAD src0_sel:WORD_1
	v_cvt_f32_f16_e32 v17, v17
	v_pk_add_f32 v[12:13], v[16:17], v[18:19]
	s_nop 0
	v_pk_fma_f32 v[4:5], v[12:13], v[6:7], v[4:5]
	s_waitcnt vmcnt(0)
	v_and_b32_e32 v26, 0xf000f, v20
	v_and_b32_e32 v27, 0xf000f0, v20
	v_lshrrev_b32_e32 v20, 8, v20
	v_and_b32_e32 v29, 0xf000f, v20
	v_and_b32_e32 v20, 0xf000f0, v20
	v_or_b32_e32 v26, 0x64006400, v26
	v_or_b32_e32 v20, 0x64006400, v20
	v_or_b32_e32 v27, 0x64006400, v27
	v_pk_add_f16 v30, v51, v26
	v_pk_fma_f16 v55, v20, s19, v8 op_sel_hi:[1,0,1]
	v_and_b32_e32 v20, 0xf000f, v21
	v_and_b32_e32 v26, 0xf000f0, v21
	v_lshrrev_b32_e32 v21, 8, v21
	v_pk_fma_f16 v31, v27, s19, v8 op_sel_hi:[1,0,1]
	v_and_b32_e32 v27, 0xf000f, v21
	v_and_b32_e32 v21, 0xf000f0, v21
	v_or_b32_e32 v20, 0x64006400, v20
	v_or_b32_e32 v21, 0x64006400, v21
	v_pk_add_f16 v56, v53, v20
	v_pk_fma_f16 v59, v21, s19, v3 op_sel_hi:[1,0,1]
	v_and_b32_e32 v20, 0xf000f, v22
	v_and_b32_e32 v21, 0xf000f0, v22
	v_or_b32_e32 v20, 0x64006400, v20
	v_or_b32_e32 v21, 0x64006400, v21
	v_pk_add_f16 v60, v52, v20
	v_pk_fma_f16 v61, v21, s19, v10 op_sel_hi:[1,0,1]
	v_and_b32_e32 v20, 0xf000f, v23
	v_and_b32_e32 v21, 0xf000f0, v23
	v_or_b32_e32 v26, 0x64006400, v26
	v_lshrrev_b32_e32 v22, 8, v22
	v_or_b32_e32 v20, 0x64006400, v20
	v_or_b32_e32 v21, 0x64006400, v21
	v_pk_fma_f16 v57, v26, s19, v3 op_sel_hi:[1,0,1]
	v_and_b32_e32 v26, 0xf000f, v22
	v_and_b32_e32 v22, 0xf000f0, v22
	v_pk_add_f16 v64, v54, v20
	v_pk_fma_f16 v65, v21, s19, v9 op_sel_hi:[1,0,1]
	ds_read2_b32 v[20:21], v28 offset0:8 offset1:9
	v_or_b32_e32 v22, 0x64006400, v22
	v_pk_fma_f16 v63, v22, s19, v10 op_sel_hi:[1,0,1]
	v_lshrrev_b32_e32 v22, 8, v23
	v_and_b32_e32 v23, 0xf000f, v22
	v_and_b32_e32 v22, 0xf000f0, v22
	v_or_b32_e32 v22, 0x64006400, v22
	v_or_b32_e32 v26, 0x64006400, v26
	;; [unrolled: 1-line block ×3, first 2 shown]
	v_pk_fma_f16 v67, v22, s19, v9 op_sel_hi:[1,0,1]
	s_waitcnt lgkmcnt(0)
	v_pk_fma_f16 v22, v30, v20, 0
	v_pk_add_f16 v62, v52, v26
	v_pk_add_f16 v66, v54, v23
	v_pk_fma_f16 v26, v31, v21, v22
	ds_read2_b32 v[22:23], v28 offset0:10 offset1:11
	v_or_b32_e32 v29, 0x64006400, v29
	v_pk_add_f16 v29, v51, v29
	v_or_b32_e32 v27, 0x64006400, v27
	v_pk_add_f16 v58, v53, v27
	s_waitcnt lgkmcnt(0)
	v_pk_fma_f16 v26, v29, v22, v26
	s_nop 0
	v_pk_fma_f16 v26, v55, v23, v26
	s_nop 0
	v_cvt_f32_f16_e32 v27, v26
	v_cvt_f32_f16_sdwa v26, v26 dst_sel:DWORD dst_unused:UNUSED_PAD src0_sel:WORD_1
	v_add_f32_e32 v26, v26, v27
	v_fmac_f32_e32 v44, v26, v49
	v_pk_fma_f16 v26, v56, v20, 0
	s_nop 0
	v_pk_fma_f16 v26, v57, v21, v26
	s_nop 0
	;; [unrolled: 2-line block ×4, first 2 shown]
	v_cvt_f32_f16_e32 v27, v26
	v_cvt_f32_f16_sdwa v26, v26 dst_sel:DWORD dst_unused:UNUSED_PAD src0_sel:WORD_1
	v_add_f32_e32 v26, v26, v27
	v_fmac_f32_e32 v45, v26, v50
	v_pk_fma_f16 v26, v60, v20, 0
	v_pk_fma_f16 v20, v64, v20, 0
	;; [unrolled: 1-line block ×8, first 2 shown]
	v_cvt_f32_f16_e32 v27, v26
	v_cvt_f32_f16_e32 v21, v20
	v_cvt_f32_f16_sdwa v20, v20 dst_sel:DWORD dst_unused:UNUSED_PAD src0_sel:WORD_1
	v_cvt_f32_f16_sdwa v26, v26 dst_sel:DWORD dst_unused:UNUSED_PAD src0_sel:WORD_1
	v_add_f32_e32 v20, v20, v21
	v_fmac_f32_e32 v43, v20, v7
	ds_read2_b32 v[20:21], v28 offset0:72 offset1:73
	v_add_f32_e32 v26, v26, v27
	v_fmac_f32_e32 v42, v26, v6
	s_waitcnt lgkmcnt(0)
	v_pk_fma_f16 v22, v30, v20, 0
	s_nop 0
	v_pk_fma_f16 v26, v31, v21, v22
	ds_read2_b32 v[22:23], v28 offset0:74 offset1:75
	s_waitcnt lgkmcnt(0)
	v_pk_fma_f16 v26, v29, v22, v26
	s_nop 0
	v_pk_fma_f16 v26, v55, v23, v26
	s_nop 0
	v_cvt_f32_f16_e32 v27, v26
	v_cvt_f32_f16_sdwa v26, v26 dst_sel:DWORD dst_unused:UNUSED_PAD src0_sel:WORD_1
	v_add_f32_e32 v26, v26, v27
	v_fmac_f32_e32 v40, v26, v49
	v_pk_fma_f16 v26, v56, v20, 0
	s_nop 0
	v_pk_fma_f16 v26, v57, v21, v26
	s_nop 0
	;; [unrolled: 2-line block ×4, first 2 shown]
	v_cvt_f32_f16_e32 v27, v26
	v_cvt_f32_f16_sdwa v26, v26 dst_sel:DWORD dst_unused:UNUSED_PAD src0_sel:WORD_1
	v_add_f32_e32 v26, v26, v27
	v_fmac_f32_e32 v41, v26, v50
	v_pk_fma_f16 v26, v60, v20, 0
	v_pk_fma_f16 v20, v64, v20, 0
	;; [unrolled: 1-line block ×8, first 2 shown]
	v_cvt_f32_f16_e32 v27, v26
	v_cvt_f32_f16_e32 v21, v20
	v_cvt_f32_f16_sdwa v20, v20 dst_sel:DWORD dst_unused:UNUSED_PAD src0_sel:WORD_1
	v_cvt_f32_f16_sdwa v26, v26 dst_sel:DWORD dst_unused:UNUSED_PAD src0_sel:WORD_1
	v_add_f32_e32 v20, v20, v21
	v_fmac_f32_e32 v39, v20, v7
	ds_read2_b32 v[20:21], v28 offset0:136 offset1:137
	v_add_f32_e32 v26, v26, v27
	v_fmac_f32_e32 v38, v26, v6
	s_waitcnt lgkmcnt(0)
	v_pk_fma_f16 v22, v30, v20, 0
	s_nop 0
	v_pk_fma_f16 v26, v31, v21, v22
	ds_read2_b32 v[22:23], v28 offset0:138 offset1:139
	s_waitcnt lgkmcnt(0)
	v_pk_fma_f16 v26, v29, v22, v26
	s_nop 0
	v_pk_fma_f16 v26, v55, v23, v26
	s_nop 0
	v_cvt_f32_f16_e32 v27, v26
	v_cvt_f32_f16_sdwa v26, v26 dst_sel:DWORD dst_unused:UNUSED_PAD src0_sel:WORD_1
	v_add_f32_e32 v26, v26, v27
	v_fmac_f32_e32 v35, v26, v49
	v_pk_fma_f16 v26, v56, v20, 0
	s_nop 0
	v_pk_fma_f16 v26, v57, v21, v26
	s_nop 0
	;; [unrolled: 2-line block ×4, first 2 shown]
	v_cvt_f32_f16_e32 v27, v26
	v_cvt_f32_f16_sdwa v26, v26 dst_sel:DWORD dst_unused:UNUSED_PAD src0_sel:WORD_1
	v_add_f32_e32 v26, v26, v27
	v_fmac_f32_e32 v36, v26, v50
	v_pk_fma_f16 v26, v60, v20, 0
	v_pk_fma_f16 v20, v64, v20, 0
	;; [unrolled: 1-line block ×8, first 2 shown]
	v_cvt_f32_f16_e32 v27, v26
	v_cvt_f32_f16_sdwa v26, v26 dst_sel:DWORD dst_unused:UNUSED_PAD src0_sel:WORD_1
	v_cvt_f32_f16_e32 v21, v20
	v_cvt_f32_f16_sdwa v20, v20 dst_sel:DWORD dst_unused:UNUSED_PAD src0_sel:WORD_1
	v_add_f32_e32 v26, v26, v27
	v_fmac_f32_e32 v33, v26, v6
	ds_read2_b32 v[26:27], v28 offset0:200 offset1:201
	v_add_f32_e32 v20, v20, v21
	v_fmac_f32_e32 v32, v20, v7
	s_waitcnt lgkmcnt(0)
	v_pk_fma_f16 v20, v30, v26, 0
	s_nop 0
	v_pk_fma_f16 v20, v31, v27, v20
	ds_read2_b32 v[30:31], v28 offset0:202 offset1:203
	s_waitcnt lgkmcnt(0)
	v_pk_fma_f16 v20, v29, v30, v20
	s_nop 0
	v_pk_fma_f16 v20, v55, v31, v20
	s_nop 0
	v_cvt_f32_f16_e32 v21, v20
	v_cvt_f32_f16_sdwa v20, v20 dst_sel:DWORD dst_unused:UNUSED_PAD src0_sel:WORD_1
	v_add_f32_e32 v20, v20, v21
	v_fmac_f32_e32 v11, v20, v49
	v_pk_fma_f16 v20, v56, v26, 0
	s_nop 0
	v_pk_fma_f16 v20, v57, v27, v20
	s_nop 0
	;; [unrolled: 2-line block ×3, first 2 shown]
	v_pk_fma_f16 v20, v59, v31, v20
	global_load_dwordx4 v[56:59], v[24:25], off
	v_cvt_f32_f16_e32 v21, v20
	v_cvt_f32_f16_sdwa v20, v20 dst_sel:DWORD dst_unused:UNUSED_PAD src0_sel:WORD_1
	v_add_f32_e32 v20, v20, v21
	v_fmac_f32_e32 v34, v20, v50
	v_pk_fma_f16 v20, v60, v26, 0
	s_waitcnt vmcnt(0)
	v_lshrrev_b32_e32 v29, 8, v57
	v_pk_fma_f16 v20, v61, v27, v20
	v_and_b32_e32 v24, 0xf000f, v56
	v_pk_fma_f16 v20, v62, v30, v20
	v_or_b32_e32 v24, 0x64006400, v24
	v_pk_fma_f16 v21, v63, v31, v20
	v_and_b32_e32 v25, 0xf000f0, v56
	v_cvt_f32_f16_e32 v20, v21
	v_cvt_f32_f16_sdwa v22, v21 dst_sel:DWORD dst_unused:UNUSED_PAD src0_sel:WORD_1
	v_pk_fma_f16 v21, v64, v26, 0
	v_lshrrev_b32_e32 v26, 8, v56
	v_pk_fma_f16 v21, v65, v27, v21
	v_and_b32_e32 v27, 0xf000f, v26
	v_and_b32_e32 v26, 0xf000f0, v26
	v_or_b32_e32 v27, 0x64006400, v27
	v_or_b32_e32 v26, 0x64006400, v26
	v_pk_fma_f16 v21, v66, v30, v21
	v_pk_add_f16 v64, v51, v27
	v_pk_fma_f16 v65, v26, s19, v8 op_sel_hi:[1,0,1]
	v_and_b32_e32 v26, 0xf000f, v57
	v_and_b32_e32 v27, 0xf000f0, v57
	;; [unrolled: 1-line block ×4, first 2 shown]
	v_or_b32_e32 v26, 0x64006400, v26
	v_or_b32_e32 v27, 0x64006400, v27
	;; [unrolled: 1-line block ×4, first 2 shown]
	v_pk_add_f16 v60, v53, v26
	v_pk_fma_f16 v61, v27, s19, v3 op_sel_hi:[1,0,1]
	v_pk_fma_f16 v63, v29, s19, v3 op_sel_hi:[1,0,1]
	v_and_b32_e32 v26, 0xf000f, v58
	v_and_b32_e32 v27, 0xf000f0, v58
	v_lshrrev_b32_e32 v29, 8, v58
	v_pk_add_f16 v62, v53, v30
	v_or_b32_e32 v26, 0x64006400, v26
	v_or_b32_e32 v27, 0x64006400, v27
	v_and_b32_e32 v30, 0xf000f, v29
	v_pk_fma_f16 v21, v67, v31, v21
	v_or_b32_e32 v31, 0x64006400, v30
	v_and_b32_e32 v29, 0xf000f0, v29
	v_pk_add_f16 v30, v52, v26
	v_pk_fma_f16 v55, v27, s19, v10 op_sel_hi:[1,0,1]
	v_and_b32_e32 v26, 0xf000f, v59
	v_and_b32_e32 v27, 0xf000f0, v59
	v_or_b32_e32 v29, 0x64006400, v29
	v_or_b32_e32 v26, 0x64006400, v26
	;; [unrolled: 1-line block ×3, first 2 shown]
	v_pk_fma_f16 v57, v29, s19, v10 op_sel_hi:[1,0,1]
	v_lshrrev_b32_e32 v29, 8, v59
	v_pk_add_f16 v58, v54, v26
	v_pk_fma_f16 v59, v27, s19, v9 op_sel_hi:[1,0,1]
	ds_read2_b32 v[26:27], v28 offset0:12 offset1:13
	v_or_b32_e32 v25, 0x64006400, v25
	v_pk_add_f16 v24, v51, v24
	v_pk_fma_f16 v25, v25, s19, v8 op_sel_hi:[1,0,1]
	v_pk_add_f16 v56, v52, v31
	s_waitcnt lgkmcnt(0)
	v_pk_fma_f16 v66, v24, v26, 0
	v_and_b32_e32 v31, 0xf000f, v29
	v_pk_fma_f16 v68, v25, v27, v66
	ds_read2_b32 v[66:67], v28 offset0:14 offset1:15
	v_or_b32_e32 v31, 0x64006400, v31
	v_and_b32_e32 v29, 0xf000f0, v29
	v_or_b32_e32 v29, 0x64006400, v29
	v_pk_add_f16 v31, v54, v31
	s_waitcnt lgkmcnt(0)
	v_pk_fma_f16 v68, v64, v66, v68
	v_pk_fma_f16 v29, v29, s19, v9 op_sel_hi:[1,0,1]
	v_pk_fma_f16 v68, v65, v67, v68
	v_cvt_f32_f16_sdwa v23, v21 dst_sel:DWORD dst_unused:UNUSED_PAD src0_sel:WORD_1
	v_cvt_f32_f16_e32 v69, v68
	v_cvt_f32_f16_sdwa v68, v68 dst_sel:DWORD dst_unused:UNUSED_PAD src0_sel:WORD_1
	v_cvt_f32_f16_e32 v21, v21
	v_add_f32_e32 v68, v68, v69
	v_fmac_f32_e32 v44, v68, v49
	v_pk_fma_f16 v68, v60, v26, 0
	v_pk_add_f32 v[12:13], v[20:21], v[22:23]
	v_pk_fma_f16 v68, v61, v27, v68
	v_pk_fma_f32 v[4:5], v[12:13], v[6:7], v[4:5]
	v_pk_fma_f16 v68, v62, v66, v68
	s_nop 0
	v_pk_fma_f16 v68, v63, v67, v68
	s_nop 0
	v_cvt_f32_f16_e32 v69, v68
	v_cvt_f32_f16_sdwa v68, v68 dst_sel:DWORD dst_unused:UNUSED_PAD src0_sel:WORD_1
	v_add_f32_e32 v68, v68, v69
	v_fmac_f32_e32 v45, v68, v50
	v_pk_fma_f16 v68, v30, v26, 0
	v_pk_fma_f16 v26, v58, v26, 0
	v_pk_fma_f16 v68, v55, v27, v68
	v_pk_fma_f16 v26, v59, v27, v26
	v_pk_fma_f16 v68, v56, v66, v68
	v_pk_fma_f16 v26, v31, v66, v26
	v_pk_fma_f16 v68, v57, v67, v68
	v_pk_fma_f16 v26, v29, v67, v26
	v_cvt_f32_f16_e32 v69, v68
	v_cvt_f32_f16_e32 v27, v26
	v_cvt_f32_f16_sdwa v26, v26 dst_sel:DWORD dst_unused:UNUSED_PAD src0_sel:WORD_1
	v_cvt_f32_f16_sdwa v68, v68 dst_sel:DWORD dst_unused:UNUSED_PAD src0_sel:WORD_1
	v_add_f32_e32 v26, v26, v27
	v_fmac_f32_e32 v43, v26, v7
	ds_read2_b32 v[26:27], v28 offset0:76 offset1:77
	v_add_f32_e32 v68, v68, v69
	v_fmac_f32_e32 v42, v68, v6
	s_waitcnt lgkmcnt(0)
	v_pk_fma_f16 v66, v24, v26, 0
	s_nop 0
	v_pk_fma_f16 v68, v25, v27, v66
	ds_read2_b32 v[66:67], v28 offset0:78 offset1:79
	s_waitcnt lgkmcnt(0)
	v_pk_fma_f16 v68, v64, v66, v68
	s_nop 0
	v_pk_fma_f16 v68, v65, v67, v68
	s_nop 0
	v_cvt_f32_f16_e32 v69, v68
	v_cvt_f32_f16_sdwa v68, v68 dst_sel:DWORD dst_unused:UNUSED_PAD src0_sel:WORD_1
	v_add_f32_e32 v68, v68, v69
	v_fmac_f32_e32 v40, v68, v49
	v_pk_fma_f16 v68, v60, v26, 0
	s_nop 0
	v_pk_fma_f16 v68, v61, v27, v68
	s_nop 0
	v_pk_fma_f16 v68, v62, v66, v68
	s_nop 0
	v_pk_fma_f16 v68, v63, v67, v68
	s_nop 0
	v_cvt_f32_f16_e32 v69, v68
	v_cvt_f32_f16_sdwa v68, v68 dst_sel:DWORD dst_unused:UNUSED_PAD src0_sel:WORD_1
	v_add_f32_e32 v68, v68, v69
	v_fmac_f32_e32 v41, v68, v50
	v_pk_fma_f16 v68, v30, v26, 0
	v_pk_fma_f16 v26, v58, v26, 0
	v_pk_fma_f16 v68, v55, v27, v68
	v_pk_fma_f16 v26, v59, v27, v26
	v_pk_fma_f16 v68, v56, v66, v68
	v_pk_fma_f16 v26, v31, v66, v26
	v_pk_fma_f16 v68, v57, v67, v68
	v_pk_fma_f16 v26, v29, v67, v26
	v_cvt_f32_f16_e32 v69, v68
	v_cvt_f32_f16_e32 v27, v26
	v_cvt_f32_f16_sdwa v26, v26 dst_sel:DWORD dst_unused:UNUSED_PAD src0_sel:WORD_1
	v_cvt_f32_f16_sdwa v68, v68 dst_sel:DWORD dst_unused:UNUSED_PAD src0_sel:WORD_1
	v_add_f32_e32 v26, v26, v27
	v_fmac_f32_e32 v39, v26, v7
	ds_read2_b32 v[26:27], v28 offset0:140 offset1:141
	v_add_f32_e32 v68, v68, v69
	v_fmac_f32_e32 v38, v68, v6
	s_waitcnt lgkmcnt(0)
	v_pk_fma_f16 v66, v24, v26, 0
	s_nop 0
	v_pk_fma_f16 v68, v25, v27, v66
	ds_read2_b32 v[66:67], v28 offset0:142 offset1:143
	s_waitcnt lgkmcnt(0)
	v_pk_fma_f16 v68, v64, v66, v68
	s_nop 0
	v_pk_fma_f16 v68, v65, v67, v68
	s_nop 0
	v_cvt_f32_f16_e32 v69, v68
	v_cvt_f32_f16_sdwa v68, v68 dst_sel:DWORD dst_unused:UNUSED_PAD src0_sel:WORD_1
	v_add_f32_e32 v68, v68, v69
	v_fmac_f32_e32 v35, v68, v49
	v_pk_fma_f16 v68, v60, v26, 0
	s_nop 0
	v_pk_fma_f16 v68, v61, v27, v68
	s_nop 0
	;; [unrolled: 43-line block ×3, first 2 shown]
	v_pk_fma_f16 v28, v62, v24, v28
	s_nop 0
	v_pk_fma_f16 v28, v63, v25, v28
	s_nop 0
	v_cvt_f32_f16_e32 v60, v28
	v_cvt_f32_f16_sdwa v28, v28 dst_sel:DWORD dst_unused:UNUSED_PAD src0_sel:WORD_1
	v_add_f32_e32 v28, v28, v60
	v_fmac_f32_e32 v34, v28, v50
	v_pk_fma_f16 v28, v30, v26, 0
	v_pk_fma_f16 v26, v58, v26, 0
	v_pk_fma_f16 v28, v55, v27, v28
	v_pk_fma_f16 v26, v59, v27, v26
	v_pk_fma_f16 v28, v56, v24, v28
	v_pk_fma_f16 v24, v31, v24, v26
	v_pk_fma_f16 v30, v57, v25, v28
	v_pk_fma_f16 v24, v29, v25, v24
	v_cvt_f32_f16_e32 v28, v30
	v_cvt_f32_f16_sdwa v30, v30 dst_sel:DWORD dst_unused:UNUSED_PAD src0_sel:WORD_1
	v_cvt_f32_f16_sdwa v31, v24 dst_sel:DWORD dst_unused:UNUSED_PAD src0_sel:WORD_1
	v_cvt_f32_f16_e32 v29, v24
	v_pk_add_f32 v[12:13], v[28:29], v[30:31]
	s_nop 0
	v_pk_fma_f32 v[4:5], v[12:13], v[6:7], v[4:5]
	s_cbranch_scc1 .LBB29_16
.LBB29_14:                              ; =>This Inner Loop Header: Depth=1
	s_cmp_lg_u32 s25, s8
	s_cbranch_scc1 .LBB29_13
; %bb.15:                               ;   in Loop: Header=BB29_14 Depth=1
	s_add_i32 s5, s5, 1
	s_mul_i32 s9, s5, s16
	s_ashr_i32 s17, s9, 31
	s_lshr_b32 s17, s17, 29
	s_add_i32 s17, s9, s17
	s_ashr_i32 s17, s17, 3
	v_add_u32_e32 v8, s17, v37
	v_ashrrev_i32_e32 v9, 31, v8
	v_lshl_add_u64 v[8:9], v[8:9], 2, s[10:11]
	global_load_dword v3, v[8:9], off
	v_add_u32_e32 v6, s9, v2
	v_ashrrev_i32_e32 v7, 31, v6
	v_lshl_add_u64 v[6:7], v[6:7], 1, s[12:13]
	global_load_dwordx2 v[6:7], v[6:7], off
	s_add_i32 s8, s8, s4
	s_waitcnt vmcnt(1)
	v_lshrrev_b32_e32 v3, v47, v3
	v_lshrrev_b32_e32 v8, 4, v3
	v_and_b32_e32 v9, 15, v3
	v_lshrrev_b32_e32 v10, 12, v3
	v_lshrrev_b32_e32 v3, 8, v3
	v_and_b32_e32 v8, 15, v8
	v_and_b32_e32 v10, 15, v10
	;; [unrolled: 1-line block ×3, first 2 shown]
	v_add_u32_e32 v9, v9, v48
	v_add_u32_e32 v8, v8, v48
	;; [unrolled: 1-line block ×4, first 2 shown]
	s_waitcnt vmcnt(0)
	v_cvt_f32_f16_e32 v49, v6
	v_cvt_f32_f16_sdwa v50, v6 dst_sel:DWORD dst_unused:UNUSED_PAD src0_sel:WORD_1
	v_cvt_f32_f16_e32 v6, v7
	v_cvt_f32_f16_sdwa v7, v7 dst_sel:DWORD dst_unused:UNUSED_PAD src0_sel:WORD_1
	v_mad_u32_u24 v51, v9, s18, v46
	v_cvt_f32_ubyte0_e32 v9, v9
	v_cvt_f32_ubyte0_e32 v12, v8
	v_mad_u32_u24 v53, v8, s18, v46
	v_mad_u32_u24 v52, v3, s18, v46
	v_cvt_f32_ubyte0_e32 v8, v10
	v_cvt_f32_ubyte0_e32 v3, v3
	v_cvt_pk_f16_f32 v9, v9, v12
	v_cvt_pk_f16_f32 v3, v3, v8
	v_pk_add_f16 v9, v9, s7 op_sel_hi:[1,0] neg_lo:[1,0] neg_hi:[1,0]
	v_pk_add_f16 v12, v3, s7 op_sel_hi:[1,0] neg_lo:[1,0] neg_hi:[1,0]
	v_mad_u32_u24 v54, v10, s18, v46
	v_mul_u32_u24_sdwa v8, v9, s18 dst_sel:DWORD dst_unused:UNUSED_PAD src0_sel:WORD_0 src1_sel:DWORD
	v_mul_u32_u24_sdwa v3, v9, s18 dst_sel:DWORD dst_unused:UNUSED_PAD src0_sel:WORD_1 src1_sel:DWORD
	v_mul_u32_u24_sdwa v10, v12, s18 dst_sel:DWORD dst_unused:UNUSED_PAD src0_sel:WORD_0 src1_sel:DWORD
	v_mul_u32_u24_sdwa v9, v12, s18 dst_sel:DWORD dst_unused:UNUSED_PAD src0_sel:WORD_1 src1_sel:DWORD
	s_branch .LBB29_13
.LBB29_16:
	s_mul_i32 s24, s24, s16
	v_add_u32_e32 v0, s24, v2
	v_ashrrev_i32_e32 v1, 31, v0
	v_lshl_add_u64 v[2:3], v[0:1], 1, s[14:15]
	global_load_dword v7, v[2:3], off
	v_cvt_pk_f16_f32 v1, v44, v45
	s_mov_b64 s[0:1], 0
.LBB29_17:                              ; =>This Inner Loop Header: Depth=1
	s_waitcnt vmcnt(0)
	v_pk_add_f16 v6, v1, v7
	global_atomic_cmpswap v6, v[2:3], v[6:7], off sc0
	s_waitcnt vmcnt(0)
	v_cmp_eq_u32_e32 vcc, v7, v6
	s_or_b64 s[0:1], vcc, s[0:1]
	v_mov_b32_e32 v7, v6
	s_andn2_b64 exec, exec, s[0:1]
	s_cbranch_execnz .LBB29_17
; %bb.18:
	s_or_b64 exec, exec, s[0:1]
	global_load_dword v7, v[2:3], off offset:4
	v_cvt_pk_f16_f32 v1, v42, v43
	s_mov_b64 s[0:1], 0
.LBB29_19:                              ; =>This Inner Loop Header: Depth=1
	s_waitcnt vmcnt(0)
	v_pk_add_f16 v6, v1, v7
	global_atomic_cmpswap v6, v[2:3], v[6:7], off offset:4 sc0
	s_waitcnt vmcnt(0)
	v_cmp_eq_u32_e32 vcc, v7, v6
	s_or_b64 s[0:1], vcc, s[0:1]
	v_mov_b32_e32 v7, v6
	s_andn2_b64 exec, exec, s[0:1]
	s_cbranch_execnz .LBB29_19
; %bb.20:
	s_or_b64 exec, exec, s[0:1]
	v_add_u32_e32 v0, s16, v0
	v_ashrrev_i32_e32 v1, 31, v0
	v_lshl_add_u64 v[2:3], v[0:1], 1, s[14:15]
	global_load_dword v7, v[2:3], off
	v_cvt_pk_f16_f32 v1, v40, v41
	s_mov_b64 s[0:1], 0
.LBB29_21:                              ; =>This Inner Loop Header: Depth=1
	s_waitcnt vmcnt(0)
	v_pk_add_f16 v6, v1, v7
	global_atomic_cmpswap v6, v[2:3], v[6:7], off sc0
	s_waitcnt vmcnt(0)
	v_cmp_eq_u32_e32 vcc, v7, v6
	s_or_b64 s[0:1], vcc, s[0:1]
	v_mov_b32_e32 v7, v6
	s_andn2_b64 exec, exec, s[0:1]
	s_cbranch_execnz .LBB29_21
; %bb.22:
	s_or_b64 exec, exec, s[0:1]
	global_load_dword v7, v[2:3], off offset:4
	v_cvt_pk_f16_f32 v1, v38, v39
	s_mov_b64 s[0:1], 0
.LBB29_23:                              ; =>This Inner Loop Header: Depth=1
	s_waitcnt vmcnt(0)
	v_pk_add_f16 v6, v1, v7
	global_atomic_cmpswap v6, v[2:3], v[6:7], off offset:4 sc0
	s_waitcnt vmcnt(0)
	v_cmp_eq_u32_e32 vcc, v7, v6
	s_or_b64 s[0:1], vcc, s[0:1]
	v_mov_b32_e32 v7, v6
	s_andn2_b64 exec, exec, s[0:1]
	s_cbranch_execnz .LBB29_23
; %bb.24:
	s_or_b64 exec, exec, s[0:1]
	;; [unrolled: 33-line block ×3, first 2 shown]
	v_add_u32_e32 v0, s16, v0
	v_ashrrev_i32_e32 v1, 31, v0
	v_lshl_add_u64 v[0:1], v[0:1], 1, s[14:15]
	global_load_dword v3, v[0:1], off
	v_cvt_pk_f16_f32 v6, v11, v34
	s_mov_b64 s[0:1], 0
.LBB29_29:                              ; =>This Inner Loop Header: Depth=1
	s_waitcnt vmcnt(0)
	v_pk_add_f16 v2, v6, v3
	global_atomic_cmpswap v2, v[0:1], v[2:3], off sc0
	s_waitcnt vmcnt(0)
	v_cmp_eq_u32_e32 vcc, v3, v2
	s_or_b64 s[0:1], vcc, s[0:1]
	v_mov_b32_e32 v3, v2
	s_andn2_b64 exec, exec, s[0:1]
	s_cbranch_execnz .LBB29_29
; %bb.30:
	s_or_b64 exec, exec, s[0:1]
	global_load_dword v3, v[0:1], off offset:4
	v_cvt_pk_f16_f32 v4, v4, v5
	s_mov_b64 s[0:1], 0
.LBB29_31:                              ; =>This Inner Loop Header: Depth=1
	s_waitcnt vmcnt(0)
	v_pk_add_f16 v2, v4, v3
	global_atomic_cmpswap v2, v[0:1], v[2:3], off offset:4 sc0
	s_waitcnt vmcnt(0)
	v_cmp_eq_u32_e32 vcc, v3, v2
	s_or_b64 s[0:1], vcc, s[0:1]
	v_mov_b32_e32 v3, v2
	s_andn2_b64 exec, exec, s[0:1]
	s_cbranch_execnz .LBB29_31
.LBB29_32:
	s_endpgm
	.section	.rodata,"a",@progbits
	.p2align	6, 0x0
	.amdhsa_kernel _ZN4vllm4gptq33gemm_half_q_half_gptq_4bit_kernelILb1ELi4EEEvPK6__halfPKjS6_S4_PS2_iiiibPKi
		.amdhsa_group_segment_fixed_size 1024
		.amdhsa_private_segment_fixed_size 0
		.amdhsa_kernarg_size 72
		.amdhsa_user_sgpr_count 2
		.amdhsa_user_sgpr_dispatch_ptr 0
		.amdhsa_user_sgpr_queue_ptr 0
		.amdhsa_user_sgpr_kernarg_segment_ptr 1
		.amdhsa_user_sgpr_dispatch_id 0
		.amdhsa_user_sgpr_kernarg_preload_length 0
		.amdhsa_user_sgpr_kernarg_preload_offset 0
		.amdhsa_user_sgpr_private_segment_size 0
		.amdhsa_uses_dynamic_stack 0
		.amdhsa_enable_private_segment 0
		.amdhsa_system_sgpr_workgroup_id_x 1
		.amdhsa_system_sgpr_workgroup_id_y 1
		.amdhsa_system_sgpr_workgroup_id_z 1
		.amdhsa_system_sgpr_workgroup_info 0
		.amdhsa_system_vgpr_workitem_id 0
		.amdhsa_next_free_vgpr 70
		.amdhsa_next_free_sgpr 27
		.amdhsa_accum_offset 72
		.amdhsa_reserve_vcc 1
		.amdhsa_float_round_mode_32 0
		.amdhsa_float_round_mode_16_64 0
		.amdhsa_float_denorm_mode_32 3
		.amdhsa_float_denorm_mode_16_64 3
		.amdhsa_dx10_clamp 1
		.amdhsa_ieee_mode 1
		.amdhsa_fp16_overflow 0
		.amdhsa_tg_split 0
		.amdhsa_exception_fp_ieee_invalid_op 0
		.amdhsa_exception_fp_denorm_src 0
		.amdhsa_exception_fp_ieee_div_zero 0
		.amdhsa_exception_fp_ieee_overflow 0
		.amdhsa_exception_fp_ieee_underflow 0
		.amdhsa_exception_fp_ieee_inexact 0
		.amdhsa_exception_int_div_zero 0
	.end_amdhsa_kernel
	.section	.text._ZN4vllm4gptq33gemm_half_q_half_gptq_4bit_kernelILb1ELi4EEEvPK6__halfPKjS6_S4_PS2_iiiibPKi,"axG",@progbits,_ZN4vllm4gptq33gemm_half_q_half_gptq_4bit_kernelILb1ELi4EEEvPK6__halfPKjS6_S4_PS2_iiiibPKi,comdat
.Lfunc_end29:
	.size	_ZN4vllm4gptq33gemm_half_q_half_gptq_4bit_kernelILb1ELi4EEEvPK6__halfPKjS6_S4_PS2_iiiibPKi, .Lfunc_end29-_ZN4vllm4gptq33gemm_half_q_half_gptq_4bit_kernelILb1ELi4EEEvPK6__halfPKjS6_S4_PS2_iiiibPKi
                                        ; -- End function
	.set _ZN4vllm4gptq33gemm_half_q_half_gptq_4bit_kernelILb1ELi4EEEvPK6__halfPKjS6_S4_PS2_iiiibPKi.num_vgpr, 70
	.set _ZN4vllm4gptq33gemm_half_q_half_gptq_4bit_kernelILb1ELi4EEEvPK6__halfPKjS6_S4_PS2_iiiibPKi.num_agpr, 0
	.set _ZN4vllm4gptq33gemm_half_q_half_gptq_4bit_kernelILb1ELi4EEEvPK6__halfPKjS6_S4_PS2_iiiibPKi.numbered_sgpr, 27
	.set _ZN4vllm4gptq33gemm_half_q_half_gptq_4bit_kernelILb1ELi4EEEvPK6__halfPKjS6_S4_PS2_iiiibPKi.num_named_barrier, 0
	.set _ZN4vllm4gptq33gemm_half_q_half_gptq_4bit_kernelILb1ELi4EEEvPK6__halfPKjS6_S4_PS2_iiiibPKi.private_seg_size, 0
	.set _ZN4vllm4gptq33gemm_half_q_half_gptq_4bit_kernelILb1ELi4EEEvPK6__halfPKjS6_S4_PS2_iiiibPKi.uses_vcc, 1
	.set _ZN4vllm4gptq33gemm_half_q_half_gptq_4bit_kernelILb1ELi4EEEvPK6__halfPKjS6_S4_PS2_iiiibPKi.uses_flat_scratch, 0
	.set _ZN4vllm4gptq33gemm_half_q_half_gptq_4bit_kernelILb1ELi4EEEvPK6__halfPKjS6_S4_PS2_iiiibPKi.has_dyn_sized_stack, 0
	.set _ZN4vllm4gptq33gemm_half_q_half_gptq_4bit_kernelILb1ELi4EEEvPK6__halfPKjS6_S4_PS2_iiiibPKi.has_recursion, 0
	.set _ZN4vllm4gptq33gemm_half_q_half_gptq_4bit_kernelILb1ELi4EEEvPK6__halfPKjS6_S4_PS2_iiiibPKi.has_indirect_call, 0
	.section	.AMDGPU.csdata,"",@progbits
; Kernel info:
; codeLenInByte = 8008
; TotalNumSgprs: 33
; NumVgprs: 70
; NumAgprs: 0
; TotalNumVgprs: 70
; ScratchSize: 0
; MemoryBound: 0
; FloatMode: 240
; IeeeMode: 1
; LDSByteSize: 1024 bytes/workgroup (compile time only)
; SGPRBlocks: 4
; VGPRBlocks: 8
; NumSGPRsForWavesPerEU: 33
; NumVGPRsForWavesPerEU: 70
; AccumOffset: 72
; Occupancy: 7
; WaveLimiterHint : 0
; COMPUTE_PGM_RSRC2:SCRATCH_EN: 0
; COMPUTE_PGM_RSRC2:USER_SGPR: 2
; COMPUTE_PGM_RSRC2:TRAP_HANDLER: 0
; COMPUTE_PGM_RSRC2:TGID_X_EN: 1
; COMPUTE_PGM_RSRC2:TGID_Y_EN: 1
; COMPUTE_PGM_RSRC2:TGID_Z_EN: 1
; COMPUTE_PGM_RSRC2:TIDIG_COMP_CNT: 0
; COMPUTE_PGM_RSRC3_GFX90A:ACCUM_OFFSET: 17
; COMPUTE_PGM_RSRC3_GFX90A:TG_SPLIT: 0
	.section	.text._ZN4vllm4gptq33gemm_half_q_half_gptq_8bit_kernelILb1ELi4EEEvPK6__halfPKjS6_S4_PS2_iiiibPKi,"axG",@progbits,_ZN4vllm4gptq33gemm_half_q_half_gptq_8bit_kernelILb1ELi4EEEvPK6__halfPKjS6_S4_PS2_iiiibPKi,comdat
	.protected	_ZN4vllm4gptq33gemm_half_q_half_gptq_8bit_kernelILb1ELi4EEEvPK6__halfPKjS6_S4_PS2_iiiibPKi ; -- Begin function _ZN4vllm4gptq33gemm_half_q_half_gptq_8bit_kernelILb1ELi4EEEvPK6__halfPKjS6_S4_PS2_iiiibPKi
	.globl	_ZN4vllm4gptq33gemm_half_q_half_gptq_8bit_kernelILb1ELi4EEEvPK6__halfPKjS6_S4_PS2_iiiibPKi
	.p2align	8
	.type	_ZN4vllm4gptq33gemm_half_q_half_gptq_8bit_kernelILb1ELi4EEEvPK6__halfPKjS6_S4_PS2_iiiibPKi,@function
_ZN4vllm4gptq33gemm_half_q_half_gptq_8bit_kernelILb1ELi4EEEvPK6__halfPKjS6_S4_PS2_iiiibPKi: ; @_ZN4vllm4gptq33gemm_half_q_half_gptq_8bit_kernelILb1ELi4EEEvPK6__halfPKjS6_S4_PS2_iiiibPKi
; %bb.0:
	s_load_dwordx8 s[8:15], s[0:1], 0x8
	s_load_dwordx4 s[16:19], s[0:1], 0x2c
	s_lshl_b32 s25, s4, 7
	s_lshl_b32 s24, s3, 2
	s_add_i32 s3, s25, 0x80
	v_cvt_f64_u32_e32 v[2:3], s3
	s_waitcnt lgkmcnt(0)
	v_cvt_f64_i32_e32 v[4:5], s17
	v_min_f64 v[2:3], v[2:3], v[4:5]
	v_cvt_i32_f64_e32 v1, v[2:3]
	v_add_u32_e32 v2, s25, v0
	v_readfirstlane_b32 s26, v1
	v_cmp_lt_u32_e32 vcc, v2, v1
	s_and_saveexec_b64 s[4:5], vcc
	s_cbranch_execz .LBB30_10
; %bb.1:
	s_load_dwordx2 s[22:23], s[0:1], 0x40
	s_load_dwordx2 s[6:7], s[0:1], 0x0
	v_mov_b32_e32 v3, 0
	v_mov_b64_e32 v[6:7], v[2:3]
	s_waitcnt lgkmcnt(0)
	s_cmp_lg_u64 s[22:23], 0
	s_cselect_b64 s[20:21], -1, 0
	s_cmp_eq_u64 s[22:23], 0
	v_lshl_add_u64 v[4:5], v[2:3], 2, s[22:23]
	s_cbranch_scc1 .LBB30_3
; %bb.2:
	global_load_dword v6, v[4:5], off
	s_waitcnt vmcnt(0)
	v_ashrrev_i32_e32 v7, 31, v6
.LBB30_3:
	s_mul_i32 s22, s24, s17
	s_ashr_i32 s23, s22, 31
	s_lshl_b64 s[0:1], s[22:23], 1
	s_add_u32 s0, s6, s0
	s_addc_u32 s1, s7, s1
	v_lshl_add_u64 v[6:7], v[6:7], 1, s[0:1]
	global_load_ushort v6, v[6:7], off
	v_lshlrev_b32_e32 v1, 1, v0
	v_cndmask_b32_e64 v7, 0, 1, s[20:21]
	v_cmp_ne_u32_e64 s[0:1], 1, v7
	s_andn2_b64 vcc, exec, s[20:21]
	s_waitcnt vmcnt(0)
	ds_write_b16 v1, v6
	v_mov_b64_e32 v[6:7], v[2:3]
	s_cbranch_vccnz .LBB30_5
; %bb.4:
	global_load_dword v6, v[4:5], off
	s_waitcnt vmcnt(0)
	v_ashrrev_i32_e32 v7, 31, v6
.LBB30_5:
	s_add_i32 s20, s22, s17
	s_ashr_i32 s21, s20, 31
	s_lshl_b64 s[22:23], s[20:21], 1
	s_add_u32 s22, s6, s22
	s_addc_u32 s23, s7, s23
	v_lshl_add_u64 v[6:7], v[6:7], 1, s[22:23]
	global_load_ushort v6, v[6:7], off
	s_and_b64 vcc, exec, s[0:1]
	s_waitcnt vmcnt(0)
	ds_write_b16 v1, v6 offset:256
	v_mov_b64_e32 v[6:7], v[2:3]
	s_cbranch_vccnz .LBB30_7
; %bb.6:
	global_load_dword v6, v[4:5], off
	s_waitcnt vmcnt(0)
	v_ashrrev_i32_e32 v7, 31, v6
.LBB30_7:
	s_add_i32 s20, s20, s17
	s_ashr_i32 s21, s20, 31
	s_lshl_b64 s[22:23], s[20:21], 1
	s_add_u32 s22, s6, s22
	s_addc_u32 s23, s7, s23
	v_lshl_add_u64 v[6:7], v[6:7], 1, s[22:23]
	global_load_ushort v6, v[6:7], off
	s_and_b64 vcc, exec, s[0:1]
	s_waitcnt vmcnt(0)
	ds_write_b16 v1, v6 offset:512
	s_cbranch_vccnz .LBB30_9
; %bb.8:
	global_load_dword v2, v[4:5], off
	s_waitcnt vmcnt(0)
	v_ashrrev_i32_e32 v3, 31, v2
.LBB30_9:
	s_add_i32 s0, s20, s17
	s_ashr_i32 s1, s0, 31
	s_lshl_b64 s[0:1], s[0:1], 1
	s_add_u32 s0, s6, s0
	s_addc_u32 s1, s7, s1
	v_lshl_add_u64 v[2:3], v[2:3], 1, s[0:1]
	global_load_ushort v2, v[2:3], off
	s_waitcnt vmcnt(0)
	ds_write_b16 v1, v2 offset:768
.LBB30_10:
	s_or_b64 exec, exec, s[4:5]
	v_lshlrev_b32_e32 v0, 2, v0
	v_lshl_add_u32 v16, s2, 9, v0
	v_cmp_gt_i32_e32 vcc, s16, v16
	s_and_saveexec_b64 s[0:1], vcc
	s_cbranch_execz .LBB30_32
; %bb.11:
	s_abs_i32 s0, s18
	v_cvt_f32_u32_e32 v0, s0
	s_mov_b32 s4, 0
	v_mov_b32_e32 v10, 0
	v_mov_b32_e32 v35, 0
	v_rcp_iflag_f32_e32 v0, v0
	v_mov_b32_e32 v11, 0
	v_mov_b32_e32 v61, 0
	s_cmp_ge_i32 s25, s26
	v_mul_f32_e32 v0, 0x4f7ffffe, v0
	v_cvt_u32_f32_e32 v0, v0
	v_mov_b32_e32 v59, 0
	v_mov_b32_e32 v60, 0
	;; [unrolled: 1-line block ×3, first 2 shown]
	v_readfirstlane_b32 s1, v0
	v_mov_b32_e32 v14, 0
	s_waitcnt lgkmcnt(0)
	s_barrier
	s_cbranch_scc1 .LBB30_16
; %bb.12:
	s_sub_i32 s6, 0, s0
	s_mul_i32 s6, s6, s1
	s_mul_hi_u32 s6, s1, s6
	s_abs_i32 s5, s17
	s_add_i32 s1, s1, s6
	s_ashr_i32 s2, s17, 31
	s_ashr_i32 s3, s18, 31
	s_mul_hi_u32 s1, s5, s1
	s_xor_b32 s2, s2, s3
	s_mul_i32 s3, s1, s0
	s_sub_i32 s3, s5, s3
	s_add_i32 s5, s1, 1
	s_sub_i32 s6, s3, s0
	s_cmp_ge_u32 s3, s0
	s_cselect_b32 s1, s5, s1
	s_cselect_b32 s3, s6, s3
	s_add_i32 s5, s1, 1
	s_cmp_ge_u32 s3, s0
	s_cselect_b32 s0, s5, s1
	s_xor_b32 s0, s0, s2
	s_sub_i32 s5, s0, s2
	v_cvt_f32_u32_e32 v0, s5
	s_bitcmp1_b32 s19, 0
	s_cselect_b64 s[0:1], -1, 0
	s_sub_i32 s2, 0, s5
	v_rcp_iflag_f32_e32 v0, v0
	s_xor_b64 s[0:1], s[0:1], -1
	v_ashrrev_i32_e32 v24, 2, v16
	v_cndmask_b32_e64 v25, 0, 1, s[0:1]
	v_mul_f32_e32 v0, 0x4f7ffffe, v0
	v_cvt_u32_f32_e32 v0, v0
	v_ashrrev_i32_e32 v17, 31, v16
	v_mov_b32_e32 v14, 0
	v_mov_b32_e32 v15, 0
	v_readfirstlane_b32 s3, v0
	s_mul_i32 s2, s2, s3
	s_mul_hi_u32 s2, s3, s2
	s_add_i32 s3, s3, s2
	s_mul_hi_u32 s2, s25, s3
	s_mul_i32 s3, s2, s5
	s_sub_i32 s3, s25, s3
	s_add_i32 s6, s2, 1
	s_sub_i32 s7, s3, s5
	s_cmp_ge_u32 s3, s5
	s_cselect_b32 s2, s6, s2
	s_cselect_b32 s3, s7, s3
	s_add_i32 s6, s2, 1
	s_cmp_ge_u32 s3, s5
	s_cselect_b32 s6, s6, s2
	s_mul_i32 s2, s6, s16
	s_ashr_i32 s3, s2, 31
	s_lshr_b32 s3, s3, 30
	s_add_i32 s3, s2, s3
	s_ashr_i32 s3, s3, 2
	v_add_u32_e32 v0, s3, v24
	v_ashrrev_i32_e32 v1, 31, v0
	v_lshl_add_u64 v[0:1], v[0:1], 2, s[10:11]
	global_load_dword v2, v[0:1], off
	v_add_u32_e32 v0, s2, v16
	v_ashrrev_i32_e32 v1, 31, v0
	v_lshl_add_u64 v[0:1], v[0:1], 1, s[12:13]
	global_load_dwordx2 v[18:19], v[0:1], off
	s_lshr_b32 s0, s25, 2
	s_mul_i32 s0, s16, s0
	s_ashr_i32 s1, s0, 31
	s_lshl_b64 s[0:1], s[0:1], 2
	s_add_u32 s0, s8, s0
	s_addc_u32 s1, s9, s1
	s_ashr_i32 s17, s16, 31
	v_mov_b32_e32 v60, 0
	v_mov_b32_e32 v59, 0
	;; [unrolled: 1-line block ×5, first 2 shown]
	s_add_i32 s7, s5, s25
	v_lshl_add_u64 v[20:21], v[16:17], 2, s[0:1]
	s_lshl_b64 s[0:1], s[16:17], 5
	s_lshl_b64 s[2:3], s[16:17], 2
	v_mov_b32_e32 v10, 0
	s_waitcnt vmcnt(1)
	v_and_b32_e32 v17, 0xff, v2
	v_bfe_u32 v26, v2, 8, 8
	v_bfe_u32 v27, v2, 16, 8
	v_lshrrev_b32_e32 v28, 24, v2
	s_branch .LBB30_14
.LBB30_13:                              ;   in Loop: Header=BB30_14 Depth=1
	v_lshl_add_u64 v[8:9], v[20:21], 0, s[2:3]
	global_load_dwordx4 v[4:7], v[20:21], off
	global_load_dwordx4 v[0:3], v[8:9], off
	v_add_u32_e32 v33, v17, v25
	v_add_u32_e32 v32, v26, v25
	;; [unrolled: 1-line block ×4, first 2 shown]
	s_add_i32 s25, s25, 32
	v_lshl_add_u64 v[20:21], v[20:21], 0, s[0:1]
	s_waitcnt vmcnt(1)
	v_sub_u32_sdwa v12, v4, v33 dst_sel:DWORD dst_unused:UNUSED_PAD src0_sel:BYTE_0 src1_sel:DWORD
	s_waitcnt vmcnt(0)
	v_sub_u32_sdwa v42, v0, v33 dst_sel:DWORD dst_unused:UNUSED_PAD src0_sel:BYTE_0 src1_sel:DWORD
	v_sub_u32_sdwa v43, v0, v33 dst_sel:DWORD dst_unused:UNUSED_PAD src0_sel:BYTE_1 src1_sel:DWORD
	v_sub_u32_sdwa v44, v0, v33 dst_sel:DWORD dst_unused:UNUSED_PAD src0_sel:BYTE_2 src1_sel:DWORD
	v_sub_u32_sdwa v0, v0, v33 dst_sel:DWORD dst_unused:UNUSED_PAD src0_sel:BYTE_3 src1_sel:DWORD
	v_sub_u32_sdwa v13, v4, v33 dst_sel:DWORD dst_unused:UNUSED_PAD src0_sel:BYTE_1 src1_sel:DWORD
	v_sub_u32_sdwa v22, v4, v33 dst_sel:DWORD dst_unused:UNUSED_PAD src0_sel:BYTE_2 src1_sel:DWORD
	v_sub_u32_sdwa v4, v4, v33 dst_sel:DWORD dst_unused:UNUSED_PAD src0_sel:BYTE_3 src1_sel:DWORD
	v_cvt_f32_i32_e32 v0, v0
	v_sub_u32_sdwa v23, v5, v32 dst_sel:DWORD dst_unused:UNUSED_PAD src0_sel:BYTE_0 src1_sel:DWORD
	v_sub_u32_sdwa v29, v5, v32 dst_sel:DWORD dst_unused:UNUSED_PAD src0_sel:BYTE_1 src1_sel:DWORD
	v_sub_u32_sdwa v34, v5, v32 dst_sel:DWORD dst_unused:UNUSED_PAD src0_sel:BYTE_2 src1_sel:DWORD
	v_sub_u32_sdwa v5, v5, v32 dst_sel:DWORD dst_unused:UNUSED_PAD src0_sel:BYTE_3 src1_sel:DWORD
	v_cvt_f32_i32_e32 v4, v4
	v_sub_u32_sdwa v36, v6, v31 dst_sel:DWORD dst_unused:UNUSED_PAD src0_sel:BYTE_0 src1_sel:DWORD
	;; [unrolled: 5-line block ×5, first 2 shown]
	v_sub_u32_sdwa v49, v2, v31 dst_sel:DWORD dst_unused:UNUSED_PAD src0_sel:BYTE_1 src1_sel:DWORD
	v_sub_u32_sdwa v50, v2, v31 dst_sel:DWORD dst_unused:UNUSED_PAD src0_sel:BYTE_2 src1_sel:DWORD
	v_sub_u32_sdwa v2, v2, v31 dst_sel:DWORD dst_unused:UNUSED_PAD src0_sel:BYTE_3 src1_sel:DWORD
	v_cvt_f32_i32_e32 v7, v7
	v_cvt_f32_i32_e32 v1, v1
	;; [unrolled: 1-line block ×3, first 2 shown]
	v_cvt_f16_f32_e32 v74, v0
	v_sub_u32_sdwa v0, v3, v30 dst_sel:DWORD dst_unused:UNUSED_PAD src0_sel:BYTE_0 src1_sel:DWORD
	v_cvt_f32_i32_e32 v12, v12
	v_cvt_f16_f32_e32 v53, v4
	v_cvt_f32_i32_e32 v4, v0
	v_sub_u32_sdwa v0, v3, v30 dst_sel:DWORD dst_unused:UNUSED_PAD src0_sel:BYTE_1 src1_sel:DWORD
	v_cvt_f32_i32_e32 v13, v13
	v_cvt_f16_f32_e32 v69, v5
	v_cvt_f32_i32_e32 v5, v0
	v_sub_u32_sdwa v0, v3, v30 dst_sel:DWORD dst_unused:UNUSED_PAD src0_sel:BYTE_2 src1_sel:DWORD
	v_cvt_f32_i32_e32 v22, v22
	v_cvt_f16_f32_e32 v54, v29
	v_cvt_f16_f32_e32 v73, v6
	v_cvt_f32_i32_e32 v6, v0
	v_sub_u32_sdwa v0, v3, v30 dst_sel:DWORD dst_unused:UNUSED_PAD src0_sel:BYTE_3 src1_sel:DWORD
	v_mov_b32_e32 v29, s4
	v_cvt_f16_f32_e32 v75, v1
	v_cvt_f16_f32_e32 v77, v2
	;; [unrolled: 1-line block ×3, first 2 shown]
	v_cvt_f32_i32_e32 v7, v0
	ds_read_b128 v[0:3], v29
	v_cvt_f32_i32_e32 v36, v36
	v_cvt_f32_i32_e32 v37, v37
	;; [unrolled: 1-line block ×5, first 2 shown]
	v_cvt_f16_f32_e32 v51, v12
	v_cvt_f32_i32_e32 v43, v43
	v_cvt_f16_f32_e32 v52, v13
	v_cvt_f32_i32_e32 v44, v44
	v_cvt_f16_f32_e32 v22, v22
	v_cvt_f16_f32_e32 v70, v36
	v_cvt_f16_f32_e32 v71, v37
	v_cvt_f16_f32_e32 v72, v38
	v_cvt_f16_f32_e32 v42, v42
	v_cvt_f16_f32_e32 v78, v39
	v_cvt_f16_f32_e32 v80, v4
	ds_read_b128 v[36:39], v29 offset:768
	s_waitcnt lgkmcnt(1)
	v_fma_mix_f32 v4, v51, v0, 0 op_sel_hi:[1,1,0]
	v_cvt_f32_i32_e32 v23, v23
	v_cvt_f16_f32_e32 v43, v43
	v_fma_mix_f32 v4, v52, v0, v4 op_sel:[0,1,0] op_sel_hi:[1,1,0]
	v_cvt_f16_f32_e32 v44, v44
	v_fma_mix_f32 v4, v22, v1, v4 op_sel_hi:[1,1,0]
	v_cvt_f32_i32_e32 v34, v34
	v_fma_mix_f32 v4, v53, v1, v4 op_sel:[0,1,0] op_sel_hi:[1,1,0]
	v_cvt_f32_i32_e32 v45, v45
	v_fma_mix_f32 v4, v42, v2, v4 op_sel_hi:[1,1,0]
	v_cvt_f16_f32_e32 v23, v23
	v_fma_mix_f32 v4, v43, v2, v4 op_sel:[0,1,0] op_sel_hi:[1,1,0]
	v_cvt_f32_i32_e32 v46, v46
	v_fma_mix_f32 v4, v44, v3, v4 op_sel_hi:[1,1,0]
	v_cvt_f32_i32_e32 v47, v47
	v_cvt_f16_f32_e32 v55, v34
	v_fma_mix_f32 v4, v74, v3, v4 op_sel:[0,1,0] op_sel_hi:[1,1,0]
	v_cvt_f16_f32_e32 v45, v45
	v_fma_mixlo_f16 v4, v4, v18, 0 op_sel_hi:[0,1,0]
	v_add_f16_e32 v34, v10, v4
	v_fma_mix_f32 v4, v23, v0, 0 op_sel_hi:[1,1,0]
	v_cvt_f16_f32_e32 v46, v46
	v_fma_mix_f32 v4, v54, v0, v4 op_sel:[0,1,0] op_sel_hi:[1,1,0]
	v_cvt_f16_f32_e32 v47, v47
	v_fma_mix_f32 v4, v55, v1, v4 op_sel_hi:[1,1,0]
	v_cvt_f32_i32_e32 v48, v48
	v_fma_mix_f32 v4, v69, v1, v4 op_sel:[0,1,0] op_sel_hi:[1,1,0]
	v_cvt_f32_i32_e32 v49, v49
	v_fma_mix_f32 v4, v45, v2, v4 op_sel_hi:[1,1,0]
	v_cvt_f32_i32_e32 v50, v50
	v_fma_mix_f32 v4, v46, v2, v4 op_sel:[0,1,0] op_sel_hi:[1,1,0]
	v_cvt_f16_f32_e32 v48, v48
	v_fma_mix_f32 v4, v47, v3, v4 op_sel_hi:[1,1,0]
	v_cvt_f16_f32_e32 v49, v49
	v_fma_mix_f32 v4, v75, v3, v4 op_sel:[0,1,0] op_sel_hi:[1,1,0]
	v_cvt_f32_i32_e32 v40, v40
	v_fma_mixlo_f16 v4, v4, v18, 0 op_sel:[0,1,0] op_sel_hi:[0,1,0]
	v_add_f16_sdwa v67, v10, v4 dst_sel:DWORD dst_unused:UNUSED_PAD src0_sel:WORD_1 src1_sel:DWORD
	v_fma_mix_f32 v4, v70, v0, 0 op_sel_hi:[1,1,0]
	v_cvt_f16_f32_e32 v76, v50
	v_fma_mix_f32 v4, v71, v0, v4 op_sel:[0,1,0] op_sel_hi:[1,1,0]
	v_cvt_f32_i32_e32 v41, v41
	v_fma_mix_f32 v4, v72, v1, v4 op_sel_hi:[1,1,0]
	v_cvt_f16_f32_e32 v40, v40
	v_fma_mix_f32 v4, v73, v1, v4 op_sel:[0,1,0] op_sel_hi:[1,1,0]
	v_cvt_f16_f32_e32 v41, v41
	v_fma_mix_f32 v4, v48, v2, v4 op_sel_hi:[1,1,0]
	v_cvt_f16_f32_e32 v81, v5
	v_fma_mix_f32 v4, v49, v2, v4 op_sel:[0,1,0] op_sel_hi:[1,1,0]
	v_cvt_f16_f32_e32 v82, v6
	v_fma_mix_f32 v4, v76, v3, v4 op_sel_hi:[1,1,0]
	v_cvt_f16_f32_e32 v83, v7
	v_fma_mix_f32 v4, v77, v3, v4 op_sel:[0,1,0] op_sel_hi:[1,1,0]
	s_add_i32 s4, s4, 64
	v_fma_mixlo_f16 v4, v4, v19, 0 op_sel_hi:[0,1,0]
	v_add_f16_e32 v68, v35, v4
	v_fma_mix_f32 v4, v78, v0, 0 op_sel_hi:[1,1,0]
	s_cmp_ge_i32 s25, s26
	v_fma_mix_f32 v0, v40, v0, v4 op_sel:[0,1,0] op_sel_hi:[1,1,0]
	ds_read_b128 v[4:7], v29 offset:256
	v_fma_mix_f32 v0, v41, v1, v0 op_sel_hi:[1,1,0]
	s_nop 0
	v_fma_mix_f32 v0, v79, v1, v0 op_sel:[0,1,0] op_sel_hi:[1,1,0]
	s_nop 0
	v_fma_mix_f32 v0, v80, v2, v0 op_sel_hi:[1,1,0]
	s_nop 0
	v_fma_mix_f32 v0, v81, v2, v0 op_sel:[0,1,0] op_sel_hi:[1,1,0]
	s_nop 0
	;; [unrolled: 4-line block ×3, first 2 shown]
	v_fma_mixlo_f16 v0, v0, v19, 0 op_sel:[0,1,0] op_sel_hi:[0,1,0]
	v_add_f16_sdwa v62, v35, v0 dst_sel:DWORD dst_unused:UNUSED_PAD src0_sel:WORD_1 src1_sel:DWORD
	s_waitcnt lgkmcnt(0)
	v_fma_mix_f32 v0, v51, v4, 0 op_sel_hi:[1,1,0]
	s_nop 0
	v_fma_mix_f32 v0, v52, v4, v0 op_sel:[0,1,0] op_sel_hi:[1,1,0]
	s_nop 0
	v_fma_mix_f32 v0, v22, v5, v0 op_sel_hi:[1,1,0]
	s_nop 0
	v_fma_mix_f32 v0, v53, v5, v0 op_sel:[0,1,0] op_sel_hi:[1,1,0]
	s_nop 0
	;; [unrolled: 4-line block ×4, first 2 shown]
	v_fma_mixlo_f16 v0, v0, v18, 0 op_sel_hi:[0,1,0]
	v_add_f16_e32 v63, v11, v0
	v_fma_mix_f32 v0, v23, v4, 0 op_sel_hi:[1,1,0]
	s_nop 0
	v_fma_mix_f32 v0, v54, v4, v0 op_sel:[0,1,0] op_sel_hi:[1,1,0]
	s_nop 0
	v_fma_mix_f32 v0, v55, v5, v0 op_sel_hi:[1,1,0]
	s_nop 0
	v_fma_mix_f32 v0, v69, v5, v0 op_sel:[0,1,0] op_sel_hi:[1,1,0]
	s_nop 0
	;; [unrolled: 4-line block ×4, first 2 shown]
	v_fma_mixlo_f16 v0, v0, v18, 0 op_sel:[0,1,0] op_sel_hi:[0,1,0]
	v_add_f16_sdwa v64, v11, v0 dst_sel:DWORD dst_unused:UNUSED_PAD src0_sel:WORD_1 src1_sel:DWORD
	v_fma_mix_f32 v0, v70, v4, 0 op_sel_hi:[1,1,0]
	ds_read_b128 v[10:13], v29 offset:512
	v_fma_mix_f32 v0, v71, v4, v0 op_sel:[0,1,0] op_sel_hi:[1,1,0]
	s_waitcnt lgkmcnt(0)
	v_fma_mix_f32 v1, v51, v10, 0 op_sel_hi:[1,1,0]
	v_fma_mix_f32 v0, v72, v5, v0 op_sel_hi:[1,1,0]
	;; [unrolled: 1-line block ×3, first 2 shown]
	v_fma_mix_f32 v0, v73, v5, v0 op_sel:[0,1,0] op_sel_hi:[1,1,0]
	v_fma_mix_f32 v1, v52, v10, v1 op_sel:[0,1,0] op_sel_hi:[1,1,0]
	v_fma_mix_f32 v0, v48, v6, v0 op_sel_hi:[1,1,0]
	v_fma_mix_f32 v2, v54, v10, v2 op_sel:[0,1,0] op_sel_hi:[1,1,0]
	v_fma_mix_f32 v0, v49, v6, v0 op_sel:[0,1,0] op_sel_hi:[1,1,0]
	v_fma_mix_f32 v1, v22, v11, v1 op_sel_hi:[1,1,0]
	v_fma_mix_f32 v0, v76, v7, v0 op_sel_hi:[1,1,0]
	;; [unrolled: 1-line block ×3, first 2 shown]
	v_fma_mix_f32 v0, v77, v7, v0 op_sel:[0,1,0] op_sel_hi:[1,1,0]
	v_fma_mix_f32 v1, v53, v11, v1 op_sel:[0,1,0] op_sel_hi:[1,1,0]
	v_fma_mixlo_f16 v0, v0, v19, 0 op_sel_hi:[0,1,0]
	v_add_f16_e32 v66, v61, v0
	v_fma_mix_f32 v0, v78, v4, 0 op_sel_hi:[1,1,0]
	v_fma_mix_f32 v2, v69, v11, v2 op_sel:[0,1,0] op_sel_hi:[1,1,0]
	v_fma_mix_f32 v0, v40, v4, v0 op_sel:[0,1,0] op_sel_hi:[1,1,0]
	v_fma_mix_f32 v4, v78, v10, 0 op_sel_hi:[1,1,0]
	v_fma_mix_f32 v0, v41, v5, v0 op_sel_hi:[1,1,0]
	v_fma_mix_f32 v4, v40, v10, v4 op_sel:[0,1,0] op_sel_hi:[1,1,0]
	v_fma_mix_f32 v1, v42, v12, v1 op_sel_hi:[1,1,0]
	v_fma_mix_f32 v4, v41, v11, v4 op_sel_hi:[1,1,0]
	;; [unrolled: 1-line block ×3, first 2 shown]
	v_fma_mix_f32 v4, v79, v11, v4 op_sel:[0,1,0] op_sel_hi:[1,1,0]
	v_fma_mix_f32 v0, v79, v5, v0 op_sel:[0,1,0] op_sel_hi:[1,1,0]
	v_fma_mix_f32 v4, v80, v12, v4 op_sel_hi:[1,1,0]
	v_fma_mix_f32 v1, v43, v12, v1 op_sel:[0,1,0] op_sel_hi:[1,1,0]
	v_fma_mix_f32 v4, v81, v12, v4 op_sel:[0,1,0] op_sel_hi:[1,1,0]
	;; [unrolled: 1-line block ×3, first 2 shown]
	v_fma_mix_f32 v4, v82, v13, v4 op_sel_hi:[1,1,0]
	v_fma_mix_f32 v0, v80, v6, v0 op_sel_hi:[1,1,0]
	v_fma_mix_f32 v4, v83, v13, v4 op_sel:[0,1,0] op_sel_hi:[1,1,0]
	v_fma_mix_f32 v1, v44, v13, v1 op_sel_hi:[1,1,0]
	v_fma_mixlo_f16 v4, v4, v19, 0 op_sel:[0,1,0] op_sel_hi:[0,1,0]
	v_add_f16_sdwa v65, v60, v4 dst_sel:DWORD dst_unused:UNUSED_PAD src0_sel:WORD_1 src1_sel:DWORD
	v_fma_mix_f32 v4, v51, v36, 0 op_sel_hi:[1,1,0]
	v_fma_mix_f32 v2, v47, v13, v2 op_sel_hi:[1,1,0]
	v_fma_mix_f32 v4, v52, v36, v4 op_sel:[0,1,0] op_sel_hi:[1,1,0]
	v_fma_mix_f32 v0, v81, v6, v0 op_sel:[0,1,0] op_sel_hi:[1,1,0]
	v_fma_mix_f32 v4, v22, v37, v4 op_sel_hi:[1,1,0]
	v_fma_mix_f32 v1, v74, v13, v1 op_sel:[0,1,0] op_sel_hi:[1,1,0]
	v_fma_mix_f32 v2, v75, v13, v2 op_sel:[0,1,0] op_sel_hi:[1,1,0]
	;; [unrolled: 1-line block ×3, first 2 shown]
	v_lshl_add_u64 v[4:5], v[8:9], 0, s[2:3]
	v_fma_mixlo_f16 v1, v1, v18, 0 op_sel_hi:[0,1,0]
	v_fma_mixlo_f16 v2, v2, v18, 0 op_sel:[0,1,0] op_sel_hi:[0,1,0]
	global_load_dwordx4 v[50:53], v[4:5], off
	v_lshl_add_u64 v[4:5], v[4:5], 0, s[2:3]
	v_add_f16_e32 v1, v59, v1
	v_add_f16_sdwa v2, v59, v2 dst_sel:DWORD dst_unused:UNUSED_PAD src0_sel:WORD_1 src1_sel:DWORD
	global_load_dwordx4 v[56:59], v[4:5], off
	v_fma_mix_f32 v3, v70, v10, 0 op_sel_hi:[1,1,0]
	v_fma_mix_f32 v6, v42, v38, v6 op_sel_hi:[1,1,0]
	v_fma_mix_f32 v3, v71, v10, v3 op_sel:[0,1,0] op_sel_hi:[1,1,0]
	v_fma_mix_f32 v6, v43, v38, v6 op_sel:[0,1,0] op_sel_hi:[1,1,0]
	v_fma_mix_f32 v3, v72, v11, v3 op_sel_hi:[1,1,0]
	v_fma_mix_f32 v6, v44, v39, v6 op_sel_hi:[1,1,0]
	v_fma_mix_f32 v3, v73, v11, v3 op_sel:[0,1,0] op_sel_hi:[1,1,0]
	v_fma_mix_f32 v6, v74, v39, v6 op_sel:[0,1,0] op_sel_hi:[1,1,0]
	v_fma_mix_f32 v3, v48, v12, v3 op_sel_hi:[1,1,0]
	v_fma_mixlo_f16 v6, v6, v18, 0 op_sel_hi:[0,1,0]
	v_fma_mix_f32 v3, v49, v12, v3 op_sel:[0,1,0] op_sel_hi:[1,1,0]
	v_fma_mix_f32 v0, v82, v7, v0 op_sel_hi:[1,1,0]
	v_fma_mix_f32 v3, v76, v13, v3 op_sel_hi:[1,1,0]
	v_fma_mix_f32 v0, v83, v7, v0 op_sel:[0,1,0] op_sel_hi:[1,1,0]
	v_fma_mix_f32 v3, v77, v13, v3 op_sel:[0,1,0] op_sel_hi:[1,1,0]
	v_add_f16_e32 v13, v15, v6
	v_fma_mix_f32 v6, v23, v36, 0 op_sel_hi:[1,1,0]
	v_fma_mix_f32 v7, v78, v36, 0 op_sel_hi:[1,1,0]
	v_fma_mix_f32 v6, v54, v36, v6 op_sel:[0,1,0] op_sel_hi:[1,1,0]
	v_fma_mix_f32 v7, v40, v36, v7 op_sel:[0,1,0] op_sel_hi:[1,1,0]
	v_fma_mix_f32 v6, v55, v37, v6 op_sel_hi:[1,1,0]
	v_fma_mix_f32 v7, v41, v37, v7 op_sel_hi:[1,1,0]
	v_fma_mix_f32 v6, v69, v37, v6 op_sel:[0,1,0] op_sel_hi:[1,1,0]
	v_fma_mix_f32 v7, v79, v37, v7 op_sel:[0,1,0] op_sel_hi:[1,1,0]
	;; [unrolled: 4-line block ×4, first 2 shown]
	v_fma_mixlo_f16 v6, v6, v18, 0 op_sel:[0,1,0] op_sel_hi:[0,1,0]
	v_add_f16_sdwa v12, v15, v6 dst_sel:DWORD dst_unused:UNUSED_PAD src0_sel:WORD_1 src1_sel:DWORD
	v_fma_mix_f32 v6, v70, v36, 0 op_sel_hi:[1,1,0]
	v_fma_mixlo_f16 v3, v3, v19, 0 op_sel_hi:[0,1,0]
	v_fma_mix_f32 v6, v71, v36, v6 op_sel:[0,1,0] op_sel_hi:[1,1,0]
	v_add_f16_e32 v3, v60, v3
	v_fma_mix_f32 v6, v72, v37, v6 op_sel_hi:[1,1,0]
	v_fma_mixlo_f16 v0, v0, v19, 0 op_sel:[0,1,0] op_sel_hi:[0,1,0]
	v_fma_mix_f32 v6, v73, v37, v6 op_sel:[0,1,0] op_sel_hi:[1,1,0]
	ds_read_b128 v[70:73], v29 offset:16
	v_fma_mix_f32 v6, v48, v38, v6 op_sel_hi:[1,1,0]
	v_add_f16_sdwa v0, v61, v0 dst_sel:DWORD dst_unused:UNUSED_PAD src0_sel:WORD_1 src1_sel:DWORD
	v_fma_mix_f32 v6, v49, v38, v6 op_sel:[0,1,0] op_sel_hi:[1,1,0]
	s_waitcnt vmcnt(1)
	v_sub_u32_sdwa v37, v51, v32 dst_sel:DWORD dst_unused:UNUSED_PAD src0_sel:BYTE_0 src1_sel:DWORD
	v_fma_mix_f32 v6, v76, v39, v6 op_sel_hi:[1,1,0]
	v_sub_u32_sdwa v41, v52, v31 dst_sel:DWORD dst_unused:UNUSED_PAD src0_sel:BYTE_0 src1_sel:DWORD
	v_fma_mix_f32 v6, v77, v39, v6 op_sel:[0,1,0] op_sel_hi:[1,1,0]
	s_waitcnt vmcnt(0)
	v_sub_u32_sdwa v8, v56, v33 dst_sel:DWORD dst_unused:UNUSED_PAD src0_sel:BYTE_0 src1_sel:DWORD
	v_fma_mixlo_f16 v6, v6, v19, 0 op_sel_hi:[0,1,0]
	v_sub_u32_sdwa v22, v56, v33 dst_sel:DWORD dst_unused:UNUSED_PAD src0_sel:BYTE_2 src1_sel:DWORD
	v_add_f16_e32 v36, v14, v6
	v_fma_mixlo_f16 v6, v35, v19, 0 op_sel:[0,1,0] op_sel_hi:[0,1,0]
	v_add_f16_sdwa v35, v14, v6 dst_sel:DWORD dst_unused:UNUSED_PAD src0_sel:WORD_1 src1_sel:DWORD
	v_cvt_f32_i32_e32 v8, v8
	v_cvt_f32_i32_e32 v14, v22
	v_sub_u32_sdwa v42, v57, v32 dst_sel:DWORD dst_unused:UNUSED_PAD src0_sel:BYTE_0 src1_sel:DWORD
	v_sub_u32_sdwa v43, v57, v32 dst_sel:DWORD dst_unused:UNUSED_PAD src0_sel:BYTE_1 src1_sel:DWORD
	v_cvt_f16_f32_e32 v22, v8
	v_cvt_f16_f32_e32 v8, v14
	v_cvt_f32_i32_e32 v14, v37
	v_sub_u32_sdwa v47, v57, v32 dst_sel:DWORD dst_unused:UNUSED_PAD src0_sel:BYTE_2 src1_sel:DWORD
	v_sub_u32_sdwa v44, v52, v31 dst_sel:DWORD dst_unused:UNUSED_PAD src0_sel:BYTE_1 src1_sel:DWORD
	v_sub_u32_sdwa v49, v58, v31 dst_sel:DWORD dst_unused:UNUSED_PAD src0_sel:BYTE_0 src1_sel:DWORD
	v_cvt_f16_f32_e32 v37, v14
	v_cvt_f32_i32_e32 v14, v42
	v_cvt_f32_i32_e32 v42, v43
	;; [unrolled: 1-line block ×3, first 2 shown]
	v_sub_u32_sdwa v7, v50, v33 dst_sel:DWORD dst_unused:UNUSED_PAD src0_sel:BYTE_0 src1_sel:DWORD
	v_cvt_f16_f32_e32 v47, v14
	v_cvt_f32_i32_e32 v14, v41
	v_cvt_f32_i32_e32 v41, v44
	v_sub_u32_sdwa v10, v50, v33 dst_sel:DWORD dst_unused:UNUSED_PAD src0_sel:BYTE_1 src1_sel:DWORD
	v_sub_u32_sdwa v11, v50, v33 dst_sel:DWORD dst_unused:UNUSED_PAD src0_sel:BYTE_2 src1_sel:DWORD
	v_cvt_f16_f32_e32 v44, v14
	v_cvt_f32_i32_e32 v14, v49
	v_sub_u32_sdwa v60, v50, v33 dst_sel:DWORD dst_unused:UNUSED_PAD src0_sel:BYTE_3 src1_sel:DWORD
	v_sub_u32_sdwa v54, v58, v31 dst_sel:DWORD dst_unused:UNUSED_PAD src0_sel:BYTE_1 src1_sel:DWORD
	v_sub_u32_sdwa v50, v53, v30 dst_sel:DWORD dst_unused:UNUSED_PAD src0_sel:BYTE_0 src1_sel:DWORD
	v_cvt_f32_i32_e32 v6, v7
	v_cvt_f32_i32_e32 v49, v54
	v_cvt_f16_f32_e32 v54, v14
	v_cvt_f32_i32_e32 v14, v50
	v_sub_u32_sdwa v9, v56, v33 dst_sel:DWORD dst_unused:UNUSED_PAD src0_sel:BYTE_1 src1_sel:DWORD
	v_sub_u32_sdwa v23, v56, v33 dst_sel:DWORD dst_unused:UNUSED_PAD src0_sel:BYTE_3 src1_sel:DWORD
	v_cvt_f32_i32_e32 v7, v10
	v_cvt_f32_i32_e32 v10, v11
	;; [unrolled: 1-line block ×5, first 2 shown]
	v_sub_u32_sdwa v15, v59, v30 dst_sel:DWORD dst_unused:UNUSED_PAD src0_sel:BYTE_0 src1_sel:DWORD
	v_cvt_f16_f32_e32 v6, v6
	v_cvt_f16_f32_e32 v50, v14
	v_cvt_f32_i32_e32 v14, v15
	v_sub_u32_sdwa v48, v57, v32 dst_sel:DWORD dst_unused:UNUSED_PAD src0_sel:BYTE_3 src1_sel:DWORD
	v_cvt_f16_f32_e32 v7, v7
	v_cvt_f16_f32_e32 v10, v10
	;; [unrolled: 1-line block ×4, first 2 shown]
	v_cvt_f32_i32_e32 v60, v48
	v_sub_u32_sdwa v57, v59, v30 dst_sel:DWORD dst_unused:UNUSED_PAD src0_sel:BYTE_1 src1_sel:DWORD
	v_cvt_f16_f32_e32 v11, v11
	v_cvt_f32_i32_e32 v15, v57
	v_cvt_f16_f32_e32 v57, v14
	s_waitcnt lgkmcnt(0)
	v_fma_mix_f32 v14, v6, v70, 0 op_sel_hi:[1,1,0]
	v_sub_u32_sdwa v45, v52, v31 dst_sel:DWORD dst_unused:UNUSED_PAD src0_sel:BYTE_2 src1_sel:DWORD
	v_sub_u32_sdwa v46, v52, v31 dst_sel:DWORD dst_unused:UNUSED_PAD src0_sel:BYTE_3 src1_sel:DWORD
	v_fma_mix_f32 v14, v7, v70, v14 op_sel:[0,1,0] op_sel_hi:[1,1,0]
	v_cvt_f16_f32_e32 v48, v42
	v_cvt_f16_f32_e32 v42, v43
	;; [unrolled: 1-line block ×3, first 2 shown]
	v_cvt_f32_i32_e32 v60, v45
	v_cvt_f32_i32_e32 v61, v46
	v_fma_mix_f32 v14, v10, v71, v14 op_sel_hi:[1,1,0]
	v_sub_u32_sdwa v55, v58, v31 dst_sel:DWORD dst_unused:UNUSED_PAD src0_sel:BYTE_2 src1_sel:DWORD
	v_fma_mix_f32 v14, v11, v71, v14 op_sel:[0,1,0] op_sel_hi:[1,1,0]
	v_sub_u32_sdwa v56, v58, v31 dst_sel:DWORD dst_unused:UNUSED_PAD src0_sel:BYTE_3 src1_sel:DWORD
	v_fma_mix_f32 v14, v22, v72, v14 op_sel_hi:[1,1,0]
	v_sub_u32_sdwa v38, v51, v32 dst_sel:DWORD dst_unused:UNUSED_PAD src0_sel:BYTE_1 src1_sel:DWORD
	v_fma_mix_f32 v14, v23, v72, v14 op_sel:[0,1,0] op_sel_hi:[1,1,0]
	v_sub_u32_sdwa v39, v51, v32 dst_sel:DWORD dst_unused:UNUSED_PAD src0_sel:BYTE_2 src1_sel:DWORD
	v_sub_u32_sdwa v40, v51, v32 dst_sel:DWORD dst_unused:UNUSED_PAD src0_sel:BYTE_3 src1_sel:DWORD
	v_sub_u32_sdwa v51, v53, v30 dst_sel:DWORD dst_unused:UNUSED_PAD src0_sel:BYTE_1 src1_sel:DWORD
	v_cvt_f16_f32_e32 v45, v41
	v_cvt_f16_f32_e32 v46, v60
	;; [unrolled: 1-line block ×3, first 2 shown]
	v_cvt_f32_i32_e32 v60, v55
	v_cvt_f32_i32_e32 v61, v56
	v_fma_mix_f32 v14, v8, v73, v14 op_sel_hi:[1,1,0]
	v_sub_u32_sdwa v52, v53, v30 dst_sel:DWORD dst_unused:UNUSED_PAD src0_sel:BYTE_2 src1_sel:DWORD
	v_cvt_f32_i32_e32 v51, v51
	v_fma_mix_f32 v14, v9, v73, v14 op_sel:[0,1,0] op_sel_hi:[1,1,0]
	v_sub_u32_sdwa v53, v53, v30 dst_sel:DWORD dst_unused:UNUSED_PAD src0_sel:BYTE_3 src1_sel:DWORD
	v_cvt_f32_i32_e32 v38, v38
	v_cvt_f32_i32_e32 v52, v52
	v_fma_mixlo_f16 v14, v14, v18, 0 op_sel_hi:[0,1,0]
	v_sub_u32_sdwa v58, v59, v30 dst_sel:DWORD dst_unused:UNUSED_PAD src0_sel:BYTE_2 src1_sel:DWORD
	v_sub_u32_sdwa v59, v59, v30 dst_sel:DWORD dst_unused:UNUSED_PAD src0_sel:BYTE_3 src1_sel:DWORD
	v_cvt_f32_i32_e32 v39, v39
	v_cvt_f32_i32_e32 v53, v53
	v_add_f16_e32 v14, v34, v14
	v_fma_mix_f32 v34, v44, v70, 0 op_sel_hi:[1,1,0]
	v_cvt_f32_i32_e32 v40, v40
	v_cvt_f16_f32_e32 v55, v49
	v_cvt_f16_f32_e32 v56, v60
	;; [unrolled: 1-line block ×3, first 2 shown]
	v_cvt_f32_i32_e32 v60, v58
	v_cvt_f32_i32_e32 v61, v59
	v_fma_mix_f32 v34, v45, v70, v34 op_sel:[0,1,0] op_sel_hi:[1,1,0]
	v_cvt_f16_f32_e32 v51, v51
	v_fma_mix_f32 v34, v46, v71, v34 op_sel_hi:[1,1,0]
	v_cvt_f16_f32_e32 v38, v38
	v_cvt_f16_f32_e32 v52, v52
	v_fma_mix_f32 v34, v41, v71, v34 op_sel:[0,1,0] op_sel_hi:[1,1,0]
	v_cvt_f16_f32_e32 v39, v39
	v_cvt_f16_f32_e32 v53, v53
	v_fma_mix_f32 v34, v54, v72, v34 op_sel_hi:[1,1,0]
	v_cvt_f16_f32_e32 v40, v40
	v_cvt_f16_f32_e32 v59, v60
	;; [unrolled: 1-line block ×3, first 2 shown]
	v_fma_mix_f32 v34, v55, v72, v34 op_sel:[0,1,0] op_sel_hi:[1,1,0]
	v_fma_mix_f32 v61, v50, v70, 0 op_sel_hi:[1,1,0]
	v_cvt_f16_f32_e32 v58, v15
	v_fma_mix_f32 v15, v37, v70, 0 op_sel_hi:[1,1,0]
	v_fma_mix_f32 v34, v56, v73, v34 op_sel_hi:[1,1,0]
	v_fma_mix_f32 v61, v51, v70, v61 op_sel:[0,1,0] op_sel_hi:[1,1,0]
	v_fma_mix_f32 v15, v38, v70, v15 op_sel:[0,1,0] op_sel_hi:[1,1,0]
	;; [unrolled: 1-line block ×3, first 2 shown]
	v_fma_mix_f32 v61, v52, v71, v61 op_sel_hi:[1,1,0]
	v_fma_mix_f32 v15, v39, v71, v15 op_sel_hi:[1,1,0]
	v_fma_mixlo_f16 v34, v34, v19, 0 op_sel_hi:[0,1,0]
	v_fma_mix_f32 v61, v53, v71, v61 op_sel:[0,1,0] op_sel_hi:[1,1,0]
	v_fma_mix_f32 v15, v40, v71, v15 op_sel:[0,1,0] op_sel_hi:[1,1,0]
	v_add_f16_e32 v34, v68, v34
	v_fma_mix_f32 v61, v57, v72, v61 op_sel_hi:[1,1,0]
	ds_read_b128 v[68:71], v29 offset:272
	v_fma_mix_f32 v61, v58, v72, v61 op_sel:[0,1,0] op_sel_hi:[1,1,0]
	v_fma_mix_f32 v15, v47, v72, v15 op_sel_hi:[1,1,0]
	v_fma_mix_f32 v61, v59, v73, v61 op_sel_hi:[1,1,0]
	v_fma_mix_f32 v15, v48, v72, v15 op_sel:[0,1,0] op_sel_hi:[1,1,0]
	v_fma_mix_f32 v61, v60, v73, v61 op_sel:[0,1,0] op_sel_hi:[1,1,0]
	v_fma_mix_f32 v15, v42, v73, v15 op_sel_hi:[1,1,0]
	v_fma_mixlo_f16 v61, v61, v19, 0 op_sel:[0,1,0] op_sel_hi:[0,1,0]
	v_add_f16_e32 v61, v62, v61
	s_waitcnt lgkmcnt(0)
	v_fma_mix_f32 v62, v6, v68, 0 op_sel_hi:[1,1,0]
	v_fma_mix_f32 v15, v43, v73, v15 op_sel:[0,1,0] op_sel_hi:[1,1,0]
	v_fma_mix_f32 v62, v7, v68, v62 op_sel:[0,1,0] op_sel_hi:[1,1,0]
	v_fma_mixlo_f16 v15, v15, v18, 0 op_sel:[0,1,0] op_sel_hi:[0,1,0]
	v_fma_mix_f32 v62, v10, v69, v62 op_sel_hi:[1,1,0]
	v_add_f16_e32 v15, v67, v15
	v_fma_mix_f32 v62, v11, v69, v62 op_sel:[0,1,0] op_sel_hi:[1,1,0]
	s_nop 0
	v_fma_mix_f32 v62, v22, v70, v62 op_sel_hi:[1,1,0]
	s_nop 0
	v_fma_mix_f32 v62, v23, v70, v62 op_sel:[0,1,0] op_sel_hi:[1,1,0]
	s_nop 0
	v_fma_mix_f32 v62, v8, v71, v62 op_sel_hi:[1,1,0]
	s_nop 0
	v_fma_mix_f32 v62, v9, v71, v62 op_sel:[0,1,0] op_sel_hi:[1,1,0]
	s_nop 0
	v_fma_mixlo_f16 v62, v62, v18, 0 op_sel_hi:[0,1,0]
	v_add_f16_e32 v62, v63, v62
	v_fma_mix_f32 v63, v37, v68, 0 op_sel_hi:[1,1,0]
	s_nop 0
	v_fma_mix_f32 v63, v38, v68, v63 op_sel:[0,1,0] op_sel_hi:[1,1,0]
	s_nop 0
	v_fma_mix_f32 v63, v39, v69, v63 op_sel_hi:[1,1,0]
	s_nop 0
	v_fma_mix_f32 v63, v40, v69, v63 op_sel:[0,1,0] op_sel_hi:[1,1,0]
	s_nop 0
	;; [unrolled: 4-line block ×4, first 2 shown]
	v_fma_mixlo_f16 v63, v63, v18, 0 op_sel:[0,1,0] op_sel_hi:[0,1,0]
	v_add_f16_e32 v63, v64, v63
	v_fma_mix_f32 v64, v44, v68, 0 op_sel_hi:[1,1,0]
	s_nop 0
	v_fma_mix_f32 v64, v45, v68, v64 op_sel:[0,1,0] op_sel_hi:[1,1,0]
	s_nop 0
	v_fma_mix_f32 v64, v46, v69, v64 op_sel_hi:[1,1,0]
	s_nop 0
	v_fma_mix_f32 v64, v41, v69, v64 op_sel:[0,1,0] op_sel_hi:[1,1,0]
	s_nop 0
	;; [unrolled: 4-line block ×4, first 2 shown]
	v_fma_mixlo_f16 v64, v64, v19, 0 op_sel_hi:[0,1,0]
	v_add_f16_e32 v64, v66, v64
	v_fma_mix_f32 v66, v50, v68, 0 op_sel_hi:[1,1,0]
	s_nop 0
	v_fma_mix_f32 v66, v51, v68, v66 op_sel:[0,1,0] op_sel_hi:[1,1,0]
	s_nop 0
	v_fma_mix_f32 v66, v52, v69, v66 op_sel_hi:[1,1,0]
	s_nop 0
	v_fma_mix_f32 v66, v53, v69, v66 op_sel:[0,1,0] op_sel_hi:[1,1,0]
	s_nop 0
	;; [unrolled: 4-line block ×3, first 2 shown]
	v_fma_mix_f32 v66, v59, v71, v66 op_sel_hi:[1,1,0]
	s_nop 0
	v_fma_mix_f32 v66, v60, v71, v66 op_sel:[0,1,0] op_sel_hi:[1,1,0]
	ds_read_b128 v[70:73], v29 offset:528
	v_fma_mixlo_f16 v66, v66, v19, 0 op_sel:[0,1,0] op_sel_hi:[0,1,0]
	v_add_f16_e32 v66, v0, v66
	s_waitcnt lgkmcnt(0)
	v_fma_mix_f32 v0, v6, v70, 0 op_sel_hi:[1,1,0]
	s_nop 0
	v_fma_mix_f32 v0, v7, v70, v0 op_sel:[0,1,0] op_sel_hi:[1,1,0]
	s_nop 0
	v_fma_mix_f32 v0, v10, v71, v0 op_sel_hi:[1,1,0]
	s_nop 0
	v_fma_mix_f32 v0, v11, v71, v0 op_sel:[0,1,0] op_sel_hi:[1,1,0]
	s_nop 0
	;; [unrolled: 4-line block ×4, first 2 shown]
	v_fma_mixlo_f16 v0, v0, v18, 0 op_sel_hi:[0,1,0]
	v_add_f16_e32 v67, v1, v0
	v_fma_mix_f32 v0, v37, v70, 0 op_sel_hi:[1,1,0]
	s_nop 0
	v_fma_mix_f32 v0, v38, v70, v0 op_sel:[0,1,0] op_sel_hi:[1,1,0]
	s_nop 0
	v_fma_mix_f32 v0, v39, v71, v0 op_sel_hi:[1,1,0]
	s_nop 0
	v_fma_mix_f32 v0, v40, v71, v0 op_sel:[0,1,0] op_sel_hi:[1,1,0]
	s_nop 0
	v_fma_mix_f32 v0, v47, v72, v0 op_sel_hi:[1,1,0]
	s_nop 0
	v_fma_mix_f32 v0, v48, v72, v0 op_sel:[0,1,0] op_sel_hi:[1,1,0]
	s_nop 0
	v_fma_mix_f32 v0, v42, v73, v0 op_sel_hi:[1,1,0]
	s_nop 0
	v_fma_mix_f32 v0, v43, v73, v0 op_sel:[0,1,0] op_sel_hi:[1,1,0]
	s_nop 0
	v_fma_mixlo_f16 v0, v0, v18, 0 op_sel:[0,1,0] op_sel_hi:[0,1,0]
	v_add_f16_e32 v68, v2, v0
	v_fma_mix_f32 v0, v44, v70, 0 op_sel_hi:[1,1,0]
	s_nop 0
	v_fma_mix_f32 v0, v45, v70, v0 op_sel:[0,1,0] op_sel_hi:[1,1,0]
	s_nop 0
	v_fma_mix_f32 v0, v46, v71, v0 op_sel_hi:[1,1,0]
	s_nop 0
	v_fma_mix_f32 v0, v41, v71, v0 op_sel:[0,1,0] op_sel_hi:[1,1,0]
	s_nop 0
	;; [unrolled: 4-line block ×4, first 2 shown]
	v_fma_mixlo_f16 v0, v0, v19, 0 op_sel_hi:[0,1,0]
	v_add_f16_e32 v69, v3, v0
	v_fma_mix_f32 v0, v50, v70, 0 op_sel_hi:[1,1,0]
	s_nop 0
	v_fma_mix_f32 v0, v51, v70, v0 op_sel:[0,1,0] op_sel_hi:[1,1,0]
	s_nop 0
	v_fma_mix_f32 v0, v52, v71, v0 op_sel_hi:[1,1,0]
	s_nop 0
	v_fma_mix_f32 v0, v53, v71, v0 op_sel:[0,1,0] op_sel_hi:[1,1,0]
	s_nop 0
	;; [unrolled: 4-line block ×3, first 2 shown]
	v_fma_mix_f32 v0, v59, v73, v0 op_sel_hi:[1,1,0]
	s_nop 0
	v_fma_mix_f32 v70, v60, v73, v0 op_sel:[0,1,0] op_sel_hi:[1,1,0]
	ds_read_b128 v[0:3], v29 offset:784
	v_fma_mixlo_f16 v70, v70, v19, 0 op_sel:[0,1,0] op_sel_hi:[0,1,0]
	v_add_f16_e32 v65, v65, v70
	s_waitcnt lgkmcnt(0)
	v_fma_mix_f32 v6, v6, v0, 0 op_sel_hi:[1,1,0]
	s_nop 0
	v_fma_mix_f32 v6, v7, v0, v6 op_sel:[0,1,0] op_sel_hi:[1,1,0]
	s_nop 0
	v_fma_mix_f32 v6, v10, v1, v6 op_sel_hi:[1,1,0]
	s_nop 0
	v_fma_mix_f32 v6, v11, v1, v6 op_sel:[0,1,0] op_sel_hi:[1,1,0]
	v_lshl_add_u64 v[10:11], v[4:5], 0, s[2:3]
	v_fma_mix_f32 v6, v22, v2, v6 op_sel_hi:[1,1,0]
	s_nop 0
	v_fma_mix_f32 v22, v23, v2, v6 op_sel:[0,1,0] op_sel_hi:[1,1,0]
	global_load_dwordx4 v[4:7], v[10:11], off
	v_fma_mix_f32 v8, v8, v3, v22 op_sel_hi:[1,1,0]
	v_lshl_add_u64 v[22:23], v[10:11], 0, s[2:3]
	v_fma_mix_f32 v70, v9, v3, v8 op_sel:[0,1,0] op_sel_hi:[1,1,0]
	global_load_dwordx4 v[8:11], v[22:23], off
	v_fma_mixlo_f16 v70, v70, v18, 0 op_sel_hi:[0,1,0]
	v_add_f16_e32 v72, v13, v70
	v_fma_mix_f32 v13, v37, v0, 0 op_sel_hi:[1,1,0]
	s_waitcnt vmcnt(0)
	v_sub_u32_sdwa v70, v11, v30 dst_sel:DWORD dst_unused:UNUSED_PAD src0_sel:BYTE_2 src1_sel:DWORD
	v_fma_mix_f32 v13, v38, v0, v13 op_sel:[0,1,0] op_sel_hi:[1,1,0]
	s_nop 0
	v_fma_mix_f32 v13, v39, v1, v13 op_sel_hi:[1,1,0]
	v_sub_u32_sdwa v39, v4, v33 dst_sel:DWORD dst_unused:UNUSED_PAD src0_sel:BYTE_1 src1_sel:DWORD
	v_fma_mix_f32 v13, v40, v1, v13 op_sel:[0,1,0] op_sel_hi:[1,1,0]
	v_sub_u32_sdwa v40, v4, v33 dst_sel:DWORD dst_unused:UNUSED_PAD src0_sel:BYTE_2 src1_sel:DWORD
	v_fma_mix_f32 v13, v47, v2, v13 op_sel_hi:[1,1,0]
	v_sub_u32_sdwa v47, v9, v32 dst_sel:DWORD dst_unused:UNUSED_PAD src0_sel:BYTE_0 src1_sel:DWORD
	v_fma_mix_f32 v13, v48, v2, v13 op_sel:[0,1,0] op_sel_hi:[1,1,0]
	v_sub_u32_sdwa v48, v9, v32 dst_sel:DWORD dst_unused:UNUSED_PAD src0_sel:BYTE_1 src1_sel:DWORD
	v_fma_mix_f32 v13, v42, v3, v13 op_sel_hi:[1,1,0]
	v_sub_u32_sdwa v42, v8, v33 dst_sel:DWORD dst_unused:UNUSED_PAD src0_sel:BYTE_1 src1_sel:DWORD
	v_fma_mix_f32 v13, v43, v3, v13 op_sel:[0,1,0] op_sel_hi:[1,1,0]
	v_sub_u32_sdwa v43, v8, v33 dst_sel:DWORD dst_unused:UNUSED_PAD src0_sel:BYTE_2 src1_sel:DWORD
	v_fma_mixlo_f16 v13, v13, v18, 0 op_sel:[0,1,0] op_sel_hi:[0,1,0]
	v_add_f16_e32 v37, v12, v13
	v_fma_mix_f32 v12, v44, v0, 0 op_sel_hi:[1,1,0]
	v_sub_u32_sdwa v44, v5, v32 dst_sel:DWORD dst_unused:UNUSED_PAD src0_sel:BYTE_0 src1_sel:DWORD
	v_fma_mix_f32 v12, v45, v0, v12 op_sel:[0,1,0] op_sel_hi:[1,1,0]
	v_sub_u32_sdwa v45, v5, v32 dst_sel:DWORD dst_unused:UNUSED_PAD src0_sel:BYTE_1 src1_sel:DWORD
	v_fma_mix_f32 v12, v46, v1, v12 op_sel_hi:[1,1,0]
	v_sub_u32_sdwa v46, v5, v32 dst_sel:DWORD dst_unused:UNUSED_PAD src0_sel:BYTE_2 src1_sel:DWORD
	v_fma_mix_f32 v12, v41, v1, v12 op_sel:[0,1,0] op_sel_hi:[1,1,0]
	v_sub_u32_sdwa v5, v5, v32 dst_sel:DWORD dst_unused:UNUSED_PAD src0_sel:BYTE_3 src1_sel:DWORD
	v_fma_mix_f32 v12, v54, v2, v12 op_sel_hi:[1,1,0]
	v_cvt_f32_i32_e32 v5, v5
	v_fma_mix_f32 v12, v55, v2, v12 op_sel:[0,1,0] op_sel_hi:[1,1,0]
	v_sub_u32_sdwa v13, v4, v33 dst_sel:DWORD dst_unused:UNUSED_PAD src0_sel:BYTE_0 src1_sel:DWORD
	v_fma_mix_f32 v12, v56, v3, v12 op_sel_hi:[1,1,0]
	v_sub_u32_sdwa v41, v8, v33 dst_sel:DWORD dst_unused:UNUSED_PAD src0_sel:BYTE_0 src1_sel:DWORD
	v_fma_mix_f32 v12, v49, v3, v12 op_sel:[0,1,0] op_sel_hi:[1,1,0]
	v_sub_u32_sdwa v8, v8, v33 dst_sel:DWORD dst_unused:UNUSED_PAD src0_sel:BYTE_3 src1_sel:DWORD
	v_fma_mixlo_f16 v12, v12, v19, 0 op_sel_hi:[0,1,0]
	v_add_f16_e32 v36, v36, v12
	v_fma_mix_f32 v12, v50, v0, 0 op_sel_hi:[1,1,0]
	v_sub_u32_sdwa v50, v6, v31 dst_sel:DWORD dst_unused:UNUSED_PAD src0_sel:BYTE_0 src1_sel:DWORD
	v_fma_mix_f32 v0, v51, v0, v12 op_sel:[0,1,0] op_sel_hi:[1,1,0]
	v_cvt_f32_i32_e32 v8, v8
	v_fma_mix_f32 v0, v52, v1, v0 op_sel_hi:[1,1,0]
	v_sub_u32_sdwa v49, v9, v32 dst_sel:DWORD dst_unused:UNUSED_PAD src0_sel:BYTE_2 src1_sel:DWORD
	v_fma_mix_f32 v0, v53, v1, v0 op_sel:[0,1,0] op_sel_hi:[1,1,0]
	v_sub_u32_sdwa v53, v10, v31 dst_sel:DWORD dst_unused:UNUSED_PAD src0_sel:BYTE_0 src1_sel:DWORD
	v_fma_mix_f32 v0, v57, v2, v0 op_sel_hi:[1,1,0]
	v_sub_u32_sdwa v51, v6, v31 dst_sel:DWORD dst_unused:UNUSED_PAD src0_sel:BYTE_1 src1_sel:DWORD
	v_fma_mix_f32 v0, v58, v2, v0 op_sel:[0,1,0] op_sel_hi:[1,1,0]
	v_sub_u32_sdwa v52, v6, v31 dst_sel:DWORD dst_unused:UNUSED_PAD src0_sel:BYTE_2 src1_sel:DWORD
	v_fma_mix_f32 v0, v59, v3, v0 op_sel_hi:[1,1,0]
	v_sub_u32_sdwa v6, v6, v31 dst_sel:DWORD dst_unused:UNUSED_PAD src0_sel:BYTE_3 src1_sel:DWORD
	v_fma_mix_f32 v12, v60, v3, v0 op_sel:[0,1,0] op_sel_hi:[1,1,0]
	v_sub_u32_sdwa v56, v7, v30 dst_sel:DWORD dst_unused:UNUSED_PAD src0_sel:BYTE_0 src1_sel:DWORD
	v_fma_mixlo_f16 v12, v12, v19, 0 op_sel:[0,1,0] op_sel_hi:[0,1,0]
	v_add_f16_e32 v38, v35, v12
	v_cvt_f32_i32_e32 v12, v13
	v_cvt_f32_i32_e32 v35, v40
	v_cvt_f16_f32_e32 v40, v5
	v_cvt_f32_i32_e32 v5, v47
	v_cvt_f16_f32_e32 v78, v12
	;; [unrolled: 2-line block ×3, first 2 shown]
	v_cvt_f16_f32_e32 v41, v5
	v_cvt_f32_i32_e32 v5, v50
	v_cvt_f16_f32_e32 v81, v12
	v_cvt_f32_i32_e32 v12, v45
	v_cvt_f32_i32_e32 v8, v44
	v_cvt_f16_f32_e32 v45, v5
	v_cvt_f32_i32_e32 v5, v53
	v_cvt_f16_f32_e32 v86, v12
	v_cvt_f32_i32_e32 v12, v49
	v_cvt_f32_i32_e32 v6, v6
	v_cvt_f16_f32_e32 v49, v5
	v_cvt_f32_i32_e32 v5, v56
	v_cvt_f32_i32_e32 v13, v39
	v_sub_u32_sdwa v4, v4, v33 dst_sel:DWORD dst_unused:UNUSED_PAD src0_sel:BYTE_3 src1_sel:DWORD
	v_sub_u32_sdwa v54, v10, v31 dst_sel:DWORD dst_unused:UNUSED_PAD src0_sel:BYTE_1 src1_sel:DWORD
	v_sub_u32_sdwa v59, v11, v30 dst_sel:DWORD dst_unused:UNUSED_PAD src0_sel:BYTE_0 src1_sel:DWORD
	ds_read_b128 v[0:3], v29 offset:32
	v_cvt_f32_i32_e32 v4, v4
	v_cvt_f16_f32_e32 v85, v8
	v_cvt_f32_i32_e32 v8, v48
	v_cvt_f16_f32_e32 v48, v6
	;; [unrolled: 2-line block ×5, first 2 shown]
	v_cvt_f32_i32_e32 v35, v43
	v_sub_u32_sdwa v57, v7, v30 dst_sel:DWORD dst_unused:UNUSED_PAD src0_sel:BYTE_1 src1_sel:DWORD
	v_cvt_f16_f32_e32 v4, v4
	v_cvt_f16_f32_e32 v50, v6
	v_cvt_f32_i32_e32 v6, v57
	v_cvt_f16_f32_e32 v57, v5
	s_waitcnt lgkmcnt(0)
	v_fma_mix_f32 v5, v78, v0, 0 op_sel_hi:[1,1,0]
	v_cvt_f16_f32_e32 v82, v13
	v_fma_mix_f32 v5, v79, v0, v5 op_sel:[0,1,0] op_sel_hi:[1,1,0]
	v_cvt_f16_f32_e32 v83, v35
	v_fma_mix_f32 v5, v80, v1, v5 op_sel_hi:[1,1,0]
	v_cvt_f32_i32_e32 v13, v46
	v_fma_mix_f32 v5, v4, v1, v5 op_sel:[0,1,0] op_sel_hi:[1,1,0]
	v_sub_u32_sdwa v9, v9, v32 dst_sel:DWORD dst_unused:UNUSED_PAD src0_sel:BYTE_3 src1_sel:DWORD
	v_fma_mix_f32 v5, v81, v2, v5 op_sel_hi:[1,1,0]
	v_cvt_f16_f32_e32 v39, v13
	v_fma_mix_f32 v5, v82, v2, v5 op_sel:[0,1,0] op_sel_hi:[1,1,0]
	v_cvt_f32_i32_e32 v9, v9
	v_fma_mix_f32 v5, v83, v3, v5 op_sel_hi:[1,1,0]
	v_cvt_f16_f32_e32 v42, v8
	v_fma_mix_f32 v5, v84, v3, v5 op_sel:[0,1,0] op_sel_hi:[1,1,0]
	v_cvt_f16_f32_e32 v43, v12
	v_fma_mixlo_f16 v5, v5, v18, 0 op_sel_hi:[0,1,0]
	v_add_f16_e32 v74, v14, v5
	v_fma_mix_f32 v5, v85, v0, 0 op_sel_hi:[1,1,0]
	v_cvt_f32_i32_e32 v8, v51
	v_fma_mix_f32 v5, v86, v0, v5 op_sel:[0,1,0] op_sel_hi:[1,1,0]
	v_cvt_f16_f32_e32 v44, v9
	v_fma_mix_f32 v5, v39, v1, v5 op_sel_hi:[1,1,0]
	v_cvt_f32_i32_e32 v9, v52
	v_fma_mix_f32 v5, v40, v1, v5 op_sel:[0,1,0] op_sel_hi:[1,1,0]
	v_sub_u32_sdwa v55, v10, v31 dst_sel:DWORD dst_unused:UNUSED_PAD src0_sel:BYTE_2 src1_sel:DWORD
	v_fma_mix_f32 v5, v41, v2, v5 op_sel_hi:[1,1,0]
	v_cvt_f16_f32_e32 v46, v8
	v_fma_mix_f32 v5, v42, v2, v5 op_sel:[0,1,0] op_sel_hi:[1,1,0]
	v_sub_u32_sdwa v10, v10, v31 dst_sel:DWORD dst_unused:UNUSED_PAD src0_sel:BYTE_3 src1_sel:DWORD
	v_fma_mix_f32 v5, v43, v3, v5 op_sel_hi:[1,1,0]
	v_cvt_f16_f32_e32 v47, v9
	v_cvt_f32_i32_e32 v8, v55
	v_fma_mix_f32 v5, v44, v3, v5 op_sel:[0,1,0] op_sel_hi:[1,1,0]
	v_cvt_f32_i32_e32 v9, v10
	v_fma_mixlo_f16 v5, v5, v18, 0 op_sel:[0,1,0] op_sel_hi:[0,1,0]
	v_add_f16_e32 v75, v15, v5
	v_fma_mix_f32 v5, v45, v0, 0 op_sel_hi:[1,1,0]
	v_sub_u32_sdwa v58, v7, v30 dst_sel:DWORD dst_unused:UNUSED_PAD src0_sel:BYTE_2 src1_sel:DWORD
	v_fma_mix_f32 v5, v46, v0, v5 op_sel:[0,1,0] op_sel_hi:[1,1,0]
	v_sub_u32_sdwa v7, v7, v30 dst_sel:DWORD dst_unused:UNUSED_PAD src0_sel:BYTE_3 src1_sel:DWORD
	v_cvt_f16_f32_e32 v51, v8
	v_fma_mix_f32 v5, v47, v1, v5 op_sel_hi:[1,1,0]
	v_cvt_f16_f32_e32 v52, v9
	v_cvt_f32_i32_e32 v8, v58
	v_cvt_f32_i32_e32 v7, v7
	v_fma_mix_f32 v5, v48, v1, v5 op_sel:[0,1,0] op_sel_hi:[1,1,0]
	v_sub_u32_sdwa v60, v11, v30 dst_sel:DWORD dst_unused:UNUSED_PAD src0_sel:BYTE_1 src1_sel:DWORD
	v_fma_mix_f32 v5, v49, v2, v5 op_sel_hi:[1,1,0]
	v_cvt_f16_f32_e32 v54, v6
	v_fma_mix_f32 v5, v50, v2, v5 op_sel:[0,1,0] op_sel_hi:[1,1,0]
	v_cvt_f32_i32_e32 v6, v60
	v_fma_mix_f32 v5, v51, v3, v5 op_sel_hi:[1,1,0]
	v_sub_u32_sdwa v11, v11, v30 dst_sel:DWORD dst_unused:UNUSED_PAD src0_sel:BYTE_3 src1_sel:DWORD
	v_cvt_f16_f32_e32 v55, v8
	v_cvt_f16_f32_e32 v56, v7
	v_cvt_f32_i32_e32 v7, v70
	v_fma_mix_f32 v5, v52, v3, v5 op_sel:[0,1,0] op_sel_hi:[1,1,0]
	v_cvt_f32_i32_e32 v8, v11
	v_fma_mixlo_f16 v5, v5, v19, 0 op_sel_hi:[0,1,0]
	v_add_f16_e32 v73, v34, v5
	v_fma_mix_f32 v5, v53, v0, 0 op_sel_hi:[1,1,0]
	v_cvt_f16_f32_e32 v58, v6
	v_fma_mix_f32 v0, v54, v0, v5 op_sel:[0,1,0] op_sel_hi:[1,1,0]
	v_cvt_f16_f32_e32 v76, v7
	v_fma_mix_f32 v0, v55, v1, v0 op_sel_hi:[1,1,0]
	v_cvt_f16_f32_e32 v77, v8
	v_fma_mix_f32 v0, v56, v1, v0 op_sel:[0,1,0] op_sel_hi:[1,1,0]
	ds_read_b128 v[12:15], v29 offset:800
	v_fma_mix_f32 v0, v57, v2, v0 op_sel_hi:[1,1,0]
	s_nop 0
	v_fma_mix_f32 v0, v58, v2, v0 op_sel:[0,1,0] op_sel_hi:[1,1,0]
	s_nop 0
	v_fma_mix_f32 v0, v76, v3, v0 op_sel_hi:[1,1,0]
	s_nop 0
	v_fma_mix_f32 v5, v77, v3, v0 op_sel:[0,1,0] op_sel_hi:[1,1,0]
	ds_read_b128 v[0:3], v29 offset:288
	v_fma_mixlo_f16 v5, v5, v19, 0 op_sel:[0,1,0] op_sel_hi:[0,1,0]
	v_add_f16_e32 v35, v61, v5
	s_waitcnt lgkmcnt(0)
	v_fma_mix_f32 v5, v78, v0, 0 op_sel_hi:[1,1,0]
	s_nop 0
	v_fma_mix_f32 v5, v79, v0, v5 op_sel:[0,1,0] op_sel_hi:[1,1,0]
	s_nop 0
	v_fma_mix_f32 v5, v80, v1, v5 op_sel_hi:[1,1,0]
	s_nop 0
	v_fma_mix_f32 v5, v4, v1, v5 op_sel:[0,1,0] op_sel_hi:[1,1,0]
	s_nop 0
	;; [unrolled: 4-line block ×4, first 2 shown]
	v_fma_mixlo_f16 v5, v5, v18, 0 op_sel_hi:[0,1,0]
	v_add_f16_e32 v70, v62, v5
	v_fma_mix_f32 v5, v85, v0, 0 op_sel_hi:[1,1,0]
	s_nop 0
	v_fma_mix_f32 v5, v86, v0, v5 op_sel:[0,1,0] op_sel_hi:[1,1,0]
	s_nop 0
	v_fma_mix_f32 v5, v39, v1, v5 op_sel_hi:[1,1,0]
	s_nop 0
	v_fma_mix_f32 v5, v40, v1, v5 op_sel:[0,1,0] op_sel_hi:[1,1,0]
	s_nop 0
	;; [unrolled: 4-line block ×4, first 2 shown]
	v_fma_mixlo_f16 v5, v5, v18, 0 op_sel:[0,1,0] op_sel_hi:[0,1,0]
	v_add_f16_e32 v71, v63, v5
	v_fma_mix_f32 v5, v45, v0, 0 op_sel_hi:[1,1,0]
	s_nop 0
	v_fma_mix_f32 v5, v46, v0, v5 op_sel:[0,1,0] op_sel_hi:[1,1,0]
	s_nop 0
	v_fma_mix_f32 v5, v47, v1, v5 op_sel_hi:[1,1,0]
	s_nop 0
	v_fma_mix_f32 v5, v48, v1, v5 op_sel:[0,1,0] op_sel_hi:[1,1,0]
	s_nop 0
	;; [unrolled: 4-line block ×4, first 2 shown]
	v_fma_mixlo_f16 v5, v5, v19, 0 op_sel_hi:[0,1,0]
	v_add_f16_e32 v64, v64, v5
	v_fma_mix_f32 v5, v53, v0, 0 op_sel_hi:[1,1,0]
	s_nop 0
	v_fma_mix_f32 v0, v54, v0, v5 op_sel:[0,1,0] op_sel_hi:[1,1,0]
	s_nop 0
	v_fma_mix_f32 v0, v55, v1, v0 op_sel_hi:[1,1,0]
	s_nop 0
	v_fma_mix_f32 v0, v56, v1, v0 op_sel:[0,1,0] op_sel_hi:[1,1,0]
	s_nop 0
	;; [unrolled: 4-line block ×3, first 2 shown]
	v_fma_mix_f32 v0, v76, v3, v0 op_sel_hi:[1,1,0]
	s_nop 0
	v_fma_mix_f32 v5, v77, v3, v0 op_sel:[0,1,0] op_sel_hi:[1,1,0]
	ds_read_b128 v[0:3], v29 offset:544
	v_fma_mixlo_f16 v5, v5, v19, 0 op_sel:[0,1,0] op_sel_hi:[0,1,0]
	v_add_f16_e32 v61, v66, v5
	s_waitcnt lgkmcnt(0)
	v_fma_mix_f32 v5, v78, v0, 0 op_sel_hi:[1,1,0]
	s_nop 0
	v_fma_mix_f32 v5, v79, v0, v5 op_sel:[0,1,0] op_sel_hi:[1,1,0]
	s_nop 0
	v_fma_mix_f32 v5, v80, v1, v5 op_sel_hi:[1,1,0]
	s_nop 0
	v_fma_mix_f32 v5, v4, v1, v5 op_sel:[0,1,0] op_sel_hi:[1,1,0]
	s_nop 0
	;; [unrolled: 4-line block ×4, first 2 shown]
	v_fma_mixlo_f16 v5, v5, v18, 0 op_sel_hi:[0,1,0]
	v_add_f16_e32 v59, v67, v5
	v_fma_mix_f32 v5, v85, v0, 0 op_sel_hi:[1,1,0]
	s_nop 0
	v_fma_mix_f32 v5, v86, v0, v5 op_sel:[0,1,0] op_sel_hi:[1,1,0]
	s_nop 0
	v_fma_mix_f32 v5, v39, v1, v5 op_sel_hi:[1,1,0]
	s_nop 0
	v_fma_mix_f32 v5, v40, v1, v5 op_sel:[0,1,0] op_sel_hi:[1,1,0]
	s_nop 0
	;; [unrolled: 4-line block ×4, first 2 shown]
	v_fma_mixlo_f16 v5, v5, v18, 0 op_sel:[0,1,0] op_sel_hi:[0,1,0]
	v_add_f16_e32 v63, v68, v5
	v_fma_mix_f32 v5, v45, v0, 0 op_sel_hi:[1,1,0]
	s_nop 0
	v_fma_mix_f32 v5, v46, v0, v5 op_sel:[0,1,0] op_sel_hi:[1,1,0]
	s_nop 0
	v_fma_mix_f32 v5, v47, v1, v5 op_sel_hi:[1,1,0]
	s_nop 0
	v_fma_mix_f32 v5, v48, v1, v5 op_sel:[0,1,0] op_sel_hi:[1,1,0]
	s_nop 0
	;; [unrolled: 4-line block ×4, first 2 shown]
	v_fma_mixlo_f16 v5, v5, v19, 0 op_sel_hi:[0,1,0]
	v_add_f16_e32 v62, v69, v5
	v_fma_mix_f32 v5, v53, v0, 0 op_sel_hi:[1,1,0]
	s_nop 0
	v_fma_mix_f32 v0, v54, v0, v5 op_sel:[0,1,0] op_sel_hi:[1,1,0]
	s_nop 0
	v_fma_mix_f32 v0, v55, v1, v0 op_sel_hi:[1,1,0]
	s_nop 0
	v_fma_mix_f32 v0, v56, v1, v0 op_sel:[0,1,0] op_sel_hi:[1,1,0]
	s_nop 0
	;; [unrolled: 4-line block ×4, first 2 shown]
	v_fma_mixlo_f16 v0, v0, v19, 0 op_sel:[0,1,0] op_sel_hi:[0,1,0]
	v_add_f16_e32 v60, v65, v0
	v_fma_mix_f32 v0, v78, v12, 0 op_sel_hi:[1,1,0]
	s_nop 0
	v_fma_mix_f32 v0, v79, v12, v0 op_sel:[0,1,0] op_sel_hi:[1,1,0]
	s_nop 0
	v_fma_mix_f32 v0, v80, v13, v0 op_sel_hi:[1,1,0]
	s_nop 0
	v_fma_mix_f32 v2, v4, v13, v0 op_sel:[0,1,0] op_sel_hi:[1,1,0]
	v_lshl_add_u64 v[0:1], v[22:23], 0, s[2:3]
	global_load_dwordx4 v[8:11], v[0:1], off
	v_lshl_add_u64 v[0:1], v[0:1], 0, s[2:3]
	global_load_dwordx4 v[4:7], v[0:1], off
	v_fma_mix_f32 v2, v81, v14, v2 op_sel_hi:[1,1,0]
	s_nop 0
	v_fma_mix_f32 v2, v82, v14, v2 op_sel:[0,1,0] op_sel_hi:[1,1,0]
	s_nop 0
	v_fma_mix_f32 v0, v83, v15, v2 op_sel_hi:[1,1,0]
	s_nop 0
	v_fma_mix_f32 v0, v84, v15, v0 op_sel:[0,1,0] op_sel_hi:[1,1,0]
	s_nop 0
	v_fma_mixlo_f16 v0, v0, v18, 0 op_sel_hi:[0,1,0]
	v_add_f16_e32 v22, v72, v0
	v_fma_mix_f32 v0, v85, v12, 0 op_sel_hi:[1,1,0]
	s_nop 0
	v_fma_mix_f32 v23, v86, v12, v0 op_sel:[0,1,0] op_sel_hi:[1,1,0]
	ds_read_b128 v[0:3], v29 offset:48
	v_fma_mix_f32 v23, v39, v13, v23 op_sel_hi:[1,1,0]
	s_waitcnt vmcnt(1)
	v_sub_u32_sdwa v39, v9, v32 dst_sel:DWORD dst_unused:UNUSED_PAD src0_sel:BYTE_1 src1_sel:DWORD
	v_fma_mix_f32 v23, v40, v13, v23 op_sel:[0,1,0] op_sel_hi:[1,1,0]
	v_sub_u32_sdwa v40, v9, v32 dst_sel:DWORD dst_unused:UNUSED_PAD src0_sel:BYTE_2 src1_sel:DWORD
	v_fma_mix_f32 v23, v41, v14, v23 op_sel_hi:[1,1,0]
	v_cvt_f32_i32_e32 v39, v39
	v_fma_mix_f32 v23, v42, v14, v23 op_sel:[0,1,0] op_sel_hi:[1,1,0]
	s_waitcnt vmcnt(0)
	v_sub_u32_sdwa v42, v5, v32 dst_sel:DWORD dst_unused:UNUSED_PAD src0_sel:BYTE_1 src1_sel:DWORD
	v_fma_mix_f32 v23, v43, v15, v23 op_sel_hi:[1,1,0]
	v_sub_u32_sdwa v43, v5, v32 dst_sel:DWORD dst_unused:UNUSED_PAD src0_sel:BYTE_2 src1_sel:DWORD
	v_fma_mix_f32 v23, v44, v15, v23 op_sel:[0,1,0] op_sel_hi:[1,1,0]
	v_cvt_f32_i32_e32 v40, v40
	v_fma_mixlo_f16 v23, v23, v18, 0 op_sel:[0,1,0] op_sel_hi:[0,1,0]
	v_add_f16_e32 v34, v37, v23
	v_fma_mix_f32 v23, v45, v12, 0 op_sel_hi:[1,1,0]
	v_sub_u32_sdwa v37, v4, v33 dst_sel:DWORD dst_unused:UNUSED_PAD src0_sel:BYTE_1 src1_sel:DWORD
	v_fma_mix_f32 v23, v46, v12, v23 op_sel:[0,1,0] op_sel_hi:[1,1,0]
	v_cvt_f32_i32_e32 v37, v37
	v_fma_mix_f32 v23, v47, v13, v23 op_sel_hi:[1,1,0]
	v_sub_u32_sdwa v45, v10, v31 dst_sel:DWORD dst_unused:UNUSED_PAD src0_sel:BYTE_2 src1_sel:DWORD
	v_fma_mix_f32 v23, v48, v13, v23 op_sel:[0,1,0] op_sel_hi:[1,1,0]
	v_cvt_f32_i32_e32 v47, v45
	v_fma_mix_f32 v23, v49, v14, v23 op_sel_hi:[1,1,0]
	v_cvt_f16_f32_e32 v39, v39
	v_fma_mix_f32 v23, v50, v14, v23 op_sel:[0,1,0] op_sel_hi:[1,1,0]
	v_cvt_f32_i32_e32 v42, v42
	v_fma_mix_f32 v23, v51, v15, v23 op_sel_hi:[1,1,0]
	v_cvt_f16_f32_e32 v40, v40
	v_fma_mix_f32 v23, v52, v15, v23 op_sel:[0,1,0] op_sel_hi:[1,1,0]
	v_cvt_f32_i32_e32 v43, v43
	v_fma_mixlo_f16 v23, v23, v19, 0 op_sel_hi:[0,1,0]
	v_add_f16_e32 v23, v36, v23
	v_fma_mix_f32 v36, v53, v12, 0 op_sel_hi:[1,1,0]
	v_cvt_f16_f32_e32 v42, v42
	v_fma_mix_f32 v12, v54, v12, v36 op_sel:[0,1,0] op_sel_hi:[1,1,0]
	v_cvt_f16_f32_e32 v43, v43
	v_fma_mix_f32 v12, v55, v13, v12 op_sel_hi:[1,1,0]
	v_cvt_f16_f32_e32 v47, v47
	v_fma_mix_f32 v12, v56, v13, v12 op_sel:[0,1,0] op_sel_hi:[1,1,0]
	v_sub_u32_sdwa v13, v8, v33 dst_sel:DWORD dst_unused:UNUSED_PAD src0_sel:BYTE_0 src1_sel:DWORD
	v_fma_mix_f32 v12, v57, v14, v12 op_sel_hi:[1,1,0]
	v_cvt_f32_i32_e32 v13, v13
	v_fma_mix_f32 v12, v58, v14, v12 op_sel:[0,1,0] op_sel_hi:[1,1,0]
	v_sub_u32_sdwa v14, v8, v33 dst_sel:DWORD dst_unused:UNUSED_PAD src0_sel:BYTE_1 src1_sel:DWORD
	v_fma_mix_f32 v12, v76, v15, v12 op_sel_hi:[1,1,0]
	v_cvt_f32_i32_e32 v14, v14
	v_fma_mix_f32 v12, v77, v15, v12 op_sel:[0,1,0] op_sel_hi:[1,1,0]
	v_sub_u32_sdwa v15, v8, v33 dst_sel:DWORD dst_unused:UNUSED_PAD src0_sel:BYTE_2 src1_sel:DWORD
	v_sub_u32_sdwa v8, v8, v33 dst_sel:DWORD dst_unused:UNUSED_PAD src0_sel:BYTE_3 src1_sel:DWORD
	v_cvt_f32_i32_e32 v15, v15
	v_cvt_f32_i32_e32 v36, v8
	v_fma_mixlo_f16 v12, v12, v19, 0 op_sel:[0,1,0] op_sel_hi:[0,1,0]
	v_add_f16_e32 v12, v38, v12
	v_cvt_f16_f32_e32 v8, v13
	v_cvt_f16_f32_e32 v13, v14
	;; [unrolled: 1-line block ×4, first 2 shown]
	v_sub_u32_sdwa v36, v4, v33 dst_sel:DWORD dst_unused:UNUSED_PAD src0_sel:BYTE_0 src1_sel:DWORD
	v_sub_u32_sdwa v38, v4, v33 dst_sel:DWORD dst_unused:UNUSED_PAD src0_sel:BYTE_2 src1_sel:DWORD
	v_sub_u32_sdwa v4, v4, v33 dst_sel:DWORD dst_unused:UNUSED_PAD src0_sel:BYTE_3 src1_sel:DWORD
	v_cvt_f32_i32_e32 v36, v36
	v_cvt_f32_i32_e32 v38, v38
	;; [unrolled: 1-line block ×3, first 2 shown]
	v_cvt_f16_f32_e32 v33, v36
	v_cvt_f16_f32_e32 v36, v37
	;; [unrolled: 1-line block ×4, first 2 shown]
	v_sub_u32_sdwa v4, v9, v32 dst_sel:DWORD dst_unused:UNUSED_PAD src0_sel:BYTE_0 src1_sel:DWORD
	v_cvt_f32_i32_e32 v4, v4
	v_sub_u32_sdwa v9, v9, v32 dst_sel:DWORD dst_unused:UNUSED_PAD src0_sel:BYTE_3 src1_sel:DWORD
	v_cvt_f32_i32_e32 v41, v9
	v_cvt_f16_f32_e32 v9, v4
	v_sub_u32_sdwa v4, v5, v32 dst_sel:DWORD dst_unused:UNUSED_PAD src0_sel:BYTE_0 src1_sel:DWORD
	v_sub_u32_sdwa v5, v5, v32 dst_sel:DWORD dst_unused:UNUSED_PAD src0_sel:BYTE_3 src1_sel:DWORD
	v_cvt_f32_i32_e32 v4, v4
	v_cvt_f32_i32_e32 v5, v5
	v_cvt_f16_f32_e32 v41, v41
	v_cvt_f16_f32_e32 v32, v4
	;; [unrolled: 1-line block ×3, first 2 shown]
	v_sub_u32_sdwa v4, v10, v31 dst_sel:DWORD dst_unused:UNUSED_PAD src0_sel:BYTE_0 src1_sel:DWORD
	v_sub_u32_sdwa v5, v10, v31 dst_sel:DWORD dst_unused:UNUSED_PAD src0_sel:BYTE_1 src1_sel:DWORD
	v_cvt_f32_i32_e32 v4, v4
	v_cvt_f32_i32_e32 v5, v5
	v_sub_u32_sdwa v10, v10, v31 dst_sel:DWORD dst_unused:UNUSED_PAD src0_sel:BYTE_3 src1_sel:DWORD
	v_cvt_f32_i32_e32 v10, v10
	v_cvt_f16_f32_e32 v45, v4
	v_cvt_f16_f32_e32 v46, v5
	v_sub_u32_sdwa v4, v6, v31 dst_sel:DWORD dst_unused:UNUSED_PAD src0_sel:BYTE_0 src1_sel:DWORD
	v_sub_u32_sdwa v5, v6, v31 dst_sel:DWORD dst_unused:UNUSED_PAD src0_sel:BYTE_1 src1_sel:DWORD
	v_cvt_f32_i32_e32 v4, v4
	v_cvt_f32_i32_e32 v5, v5
	v_cvt_f16_f32_e32 v48, v10
	v_sub_u32_sdwa v10, v6, v31 dst_sel:DWORD dst_unused:UNUSED_PAD src0_sel:BYTE_2 src1_sel:DWORD
	v_sub_u32_sdwa v6, v6, v31 dst_sel:DWORD dst_unused:UNUSED_PAD src0_sel:BYTE_3 src1_sel:DWORD
	v_cvt_f16_f32_e32 v31, v4
	v_cvt_f16_f32_e32 v49, v5
	v_sub_u32_sdwa v4, v11, v30 dst_sel:DWORD dst_unused:UNUSED_PAD src0_sel:BYTE_0 src1_sel:DWORD
	v_sub_u32_sdwa v5, v11, v30 dst_sel:DWORD dst_unused:UNUSED_PAD src0_sel:BYTE_1 src1_sel:DWORD
	v_cvt_f32_i32_e32 v6, v6
	v_cvt_f32_i32_e32 v4, v4
	;; [unrolled: 1-line block ×4, first 2 shown]
	v_cvt_f16_f32_e32 v51, v6
	v_sub_u32_sdwa v6, v11, v30 dst_sel:DWORD dst_unused:UNUSED_PAD src0_sel:BYTE_2 src1_sel:DWORD
	v_cvt_f16_f32_e32 v52, v4
	v_cvt_f16_f32_e32 v53, v5
	v_sub_u32_sdwa v4, v7, v30 dst_sel:DWORD dst_unused:UNUSED_PAD src0_sel:BYTE_0 src1_sel:DWORD
	v_sub_u32_sdwa v5, v7, v30 dst_sel:DWORD dst_unused:UNUSED_PAD src0_sel:BYTE_1 src1_sel:DWORD
	v_cvt_f32_i32_e32 v6, v6
	v_cvt_f32_i32_e32 v4, v4
	;; [unrolled: 1-line block ×3, first 2 shown]
	v_cvt_f16_f32_e32 v50, v10
	v_sub_u32_sdwa v10, v11, v30 dst_sel:DWORD dst_unused:UNUSED_PAD src0_sel:BYTE_3 src1_sel:DWORD
	v_cvt_f16_f32_e32 v54, v6
	v_sub_u32_sdwa v6, v7, v30 dst_sel:DWORD dst_unused:UNUSED_PAD src0_sel:BYTE_2 src1_sel:DWORD
	v_sub_u32_sdwa v7, v7, v30 dst_sel:DWORD dst_unused:UNUSED_PAD src0_sel:BYTE_3 src1_sel:DWORD
	v_cvt_f16_f32_e32 v30, v4
	v_cvt_f16_f32_e32 v56, v5
	s_waitcnt lgkmcnt(0)
	v_fma_mix_f32 v4, v8, v0, 0 op_sel_hi:[1,1,0]
	v_fma_mix_f32 v5, v9, v0, 0 op_sel_hi:[1,1,0]
	v_fma_mix_f32 v4, v13, v0, v4 op_sel:[0,1,0] op_sel_hi:[1,1,0]
	v_fma_mix_f32 v5, v39, v0, v5 op_sel:[0,1,0] op_sel_hi:[1,1,0]
	v_fma_mix_f32 v4, v14, v1, v4 op_sel_hi:[1,1,0]
	v_fma_mix_f32 v5, v40, v1, v5 op_sel_hi:[1,1,0]
	v_fma_mix_f32 v4, v15, v1, v4 op_sel:[0,1,0] op_sel_hi:[1,1,0]
	v_fma_mix_f32 v5, v41, v1, v5 op_sel:[0,1,0] op_sel_hi:[1,1,0]
	;; [unrolled: 4-line block ×3, first 2 shown]
	v_cvt_f32_i32_e32 v10, v10
	v_fma_mix_f32 v4, v37, v3, v4 op_sel_hi:[1,1,0]
	v_fma_mix_f32 v5, v43, v3, v5 op_sel_hi:[1,1,0]
	v_fma_mix_f32 v4, v38, v3, v4 op_sel:[0,1,0] op_sel_hi:[1,1,0]
	v_fma_mix_f32 v5, v44, v3, v5 op_sel:[0,1,0] op_sel_hi:[1,1,0]
	v_fma_mixlo_f16 v4, v4, v18, 0 op_sel_hi:[0,1,0]
	v_fma_mixlo_f16 v5, v5, v18, 0 op_sel:[0,1,0] op_sel_hi:[0,1,0]
	v_add_f16_e32 v4, v74, v4
	v_add_f16_e32 v5, v75, v5
	v_cvt_f16_f32_e32 v55, v10
	v_pack_b32_f16 v10, v4, v5
	v_fma_mix_f32 v4, v45, v0, 0 op_sel_hi:[1,1,0]
	v_cvt_f32_i32_e32 v6, v6
	v_fma_mix_f32 v4, v46, v0, v4 op_sel:[0,1,0] op_sel_hi:[1,1,0]
	v_cvt_f32_i32_e32 v7, v7
	v_fma_mix_f32 v4, v47, v1, v4 op_sel_hi:[1,1,0]
	v_cvt_f16_f32_e32 v57, v6
	v_fma_mix_f32 v4, v48, v1, v4 op_sel:[0,1,0] op_sel_hi:[1,1,0]
	v_cvt_f16_f32_e32 v58, v7
	v_fma_mix_f32 v4, v31, v2, v4 op_sel_hi:[1,1,0]
	s_nop 0
	v_fma_mix_f32 v4, v49, v2, v4 op_sel:[0,1,0] op_sel_hi:[1,1,0]
	s_nop 0
	v_fma_mix_f32 v4, v50, v3, v4 op_sel_hi:[1,1,0]
	s_nop 0
	v_fma_mix_f32 v4, v51, v3, v4 op_sel:[0,1,0] op_sel_hi:[1,1,0]
	s_nop 0
	v_fma_mixlo_f16 v4, v4, v19, 0 op_sel_hi:[0,1,0]
	v_add_f16_e32 v11, v73, v4
	v_fma_mix_f32 v4, v52, v0, 0 op_sel_hi:[1,1,0]
	s_nop 0
	v_fma_mix_f32 v0, v53, v0, v4 op_sel:[0,1,0] op_sel_hi:[1,1,0]
	ds_read_b128 v[4:7], v29 offset:304
	v_fma_mix_f32 v0, v54, v1, v0 op_sel_hi:[1,1,0]
	s_nop 0
	v_fma_mix_f32 v0, v55, v1, v0 op_sel:[0,1,0] op_sel_hi:[1,1,0]
	s_waitcnt lgkmcnt(0)
	v_fma_mix_f32 v1, v9, v4, 0 op_sel_hi:[1,1,0]
	v_fma_mix_f32 v0, v30, v2, v0 op_sel_hi:[1,1,0]
	v_fma_mix_f32 v1, v39, v4, v1 op_sel:[0,1,0] op_sel_hi:[1,1,0]
	v_fma_mix_f32 v0, v56, v2, v0 op_sel:[0,1,0] op_sel_hi:[1,1,0]
	v_fma_mix_f32 v1, v40, v5, v1 op_sel_hi:[1,1,0]
	v_fma_mix_f32 v0, v57, v3, v0 op_sel_hi:[1,1,0]
	v_fma_mix_f32 v1, v41, v5, v1 op_sel:[0,1,0] op_sel_hi:[1,1,0]
	v_fma_mix_f32 v0, v58, v3, v0 op_sel:[0,1,0] op_sel_hi:[1,1,0]
	v_fma_mix_f32 v1, v32, v6, v1 op_sel_hi:[1,1,0]
	v_fma_mixlo_f16 v0, v0, v19, 0 op_sel:[0,1,0] op_sel_hi:[0,1,0]
	v_add_f16_e32 v0, v35, v0
	v_pack_b32_f16 v35, v11, v0
	v_fma_mix_f32 v0, v8, v4, 0 op_sel_hi:[1,1,0]
	v_fma_mix_f32 v1, v42, v6, v1 op_sel:[0,1,0] op_sel_hi:[1,1,0]
	v_fma_mix_f32 v0, v13, v4, v0 op_sel:[0,1,0] op_sel_hi:[1,1,0]
	v_fma_mix_f32 v1, v43, v7, v1 op_sel_hi:[1,1,0]
	v_fma_mix_f32 v0, v14, v5, v0 op_sel_hi:[1,1,0]
	v_fma_mix_f32 v1, v44, v7, v1 op_sel:[0,1,0] op_sel_hi:[1,1,0]
	v_fma_mix_f32 v0, v15, v5, v0 op_sel:[0,1,0] op_sel_hi:[1,1,0]
	v_fma_mixlo_f16 v1, v1, v18, 0 op_sel:[0,1,0] op_sel_hi:[0,1,0]
	v_fma_mix_f32 v0, v33, v6, v0 op_sel_hi:[1,1,0]
	v_add_f16_e32 v1, v71, v1
	v_fma_mix_f32 v0, v36, v6, v0 op_sel:[0,1,0] op_sel_hi:[1,1,0]
	s_nop 0
	v_fma_mix_f32 v0, v37, v7, v0 op_sel_hi:[1,1,0]
	s_nop 0
	v_fma_mix_f32 v0, v38, v7, v0 op_sel:[0,1,0] op_sel_hi:[1,1,0]
	s_nop 0
	v_fma_mixlo_f16 v0, v0, v18, 0 op_sel_hi:[0,1,0]
	v_add_f16_e32 v0, v70, v0
	v_pack_b32_f16 v11, v0, v1
	v_fma_mix_f32 v0, v45, v4, 0 op_sel_hi:[1,1,0]
	v_fma_mix_f32 v1, v52, v4, 0 op_sel_hi:[1,1,0]
	v_fma_mix_f32 v0, v46, v4, v0 op_sel:[0,1,0] op_sel_hi:[1,1,0]
	v_fma_mix_f32 v1, v53, v4, v1 op_sel:[0,1,0] op_sel_hi:[1,1,0]
	v_fma_mix_f32 v0, v47, v5, v0 op_sel_hi:[1,1,0]
	v_fma_mix_f32 v1, v54, v5, v1 op_sel_hi:[1,1,0]
	v_fma_mix_f32 v0, v48, v5, v0 op_sel:[0,1,0] op_sel_hi:[1,1,0]
	v_fma_mix_f32 v1, v55, v5, v1 op_sel:[0,1,0] op_sel_hi:[1,1,0]
	;; [unrolled: 4-line block ×3, first 2 shown]
	ds_read_b128 v[2:5], v29 offset:560
	v_fma_mix_f32 v0, v50, v7, v0 op_sel_hi:[1,1,0]
	v_fma_mix_f32 v1, v57, v7, v1 op_sel_hi:[1,1,0]
	v_fma_mix_f32 v0, v51, v7, v0 op_sel:[0,1,0] op_sel_hi:[1,1,0]
	v_fma_mix_f32 v1, v58, v7, v1 op_sel:[0,1,0] op_sel_hi:[1,1,0]
	v_fma_mixlo_f16 v0, v0, v19, 0 op_sel_hi:[0,1,0]
	v_fma_mixlo_f16 v1, v1, v19, 0 op_sel:[0,1,0] op_sel_hi:[0,1,0]
	v_add_f16_e32 v0, v64, v0
	v_add_f16_e32 v1, v61, v1
	v_pack_b32_f16 v61, v0, v1
	s_waitcnt lgkmcnt(0)
	v_fma_mix_f32 v0, v8, v2, 0 op_sel_hi:[1,1,0]
	v_fma_mix_f32 v1, v9, v2, 0 op_sel_hi:[1,1,0]
	v_fma_mix_f32 v0, v13, v2, v0 op_sel:[0,1,0] op_sel_hi:[1,1,0]
	v_fma_mix_f32 v1, v39, v2, v1 op_sel:[0,1,0] op_sel_hi:[1,1,0]
	v_fma_mix_f32 v0, v14, v3, v0 op_sel_hi:[1,1,0]
	v_fma_mix_f32 v1, v40, v3, v1 op_sel_hi:[1,1,0]
	v_fma_mix_f32 v0, v15, v3, v0 op_sel:[0,1,0] op_sel_hi:[1,1,0]
	v_fma_mix_f32 v1, v41, v3, v1 op_sel:[0,1,0] op_sel_hi:[1,1,0]
	;; [unrolled: 4-line block ×4, first 2 shown]
	v_fma_mixlo_f16 v0, v0, v18, 0 op_sel_hi:[0,1,0]
	v_fma_mixlo_f16 v1, v1, v18, 0 op_sel:[0,1,0] op_sel_hi:[0,1,0]
	v_add_f16_e32 v0, v59, v0
	v_add_f16_e32 v1, v63, v1
	v_pack_b32_f16 v59, v0, v1
	v_fma_mix_f32 v0, v45, v2, 0 op_sel_hi:[1,1,0]
	s_nop 0
	v_fma_mix_f32 v0, v46, v2, v0 op_sel:[0,1,0] op_sel_hi:[1,1,0]
	s_nop 0
	v_fma_mix_f32 v0, v47, v3, v0 op_sel_hi:[1,1,0]
	s_nop 0
	v_fma_mix_f32 v0, v48, v3, v0 op_sel:[0,1,0] op_sel_hi:[1,1,0]
	s_nop 0
	;; [unrolled: 4-line block ×4, first 2 shown]
	v_fma_mixlo_f16 v0, v0, v19, 0 op_sel_hi:[0,1,0]
	v_add_f16_e32 v6, v62, v0
	v_fma_mix_f32 v0, v52, v2, 0 op_sel_hi:[1,1,0]
	s_nop 0
	v_fma_mix_f32 v0, v53, v2, v0 op_sel:[0,1,0] op_sel_hi:[1,1,0]
	s_nop 0
	v_fma_mix_f32 v0, v54, v3, v0 op_sel_hi:[1,1,0]
	s_nop 0
	v_fma_mix_f32 v0, v55, v3, v0 op_sel:[0,1,0] op_sel_hi:[1,1,0]
	s_nop 0
	;; [unrolled: 4-line block ×3, first 2 shown]
	v_fma_mix_f32 v4, v57, v5, v0 op_sel_hi:[1,1,0]
	ds_read_b128 v[0:3], v29 offset:816
	v_fma_mix_f32 v4, v58, v5, v4 op_sel:[0,1,0] op_sel_hi:[1,1,0]
	s_waitcnt lgkmcnt(0)
	v_fma_mix_f32 v5, v9, v0, 0 op_sel_hi:[1,1,0]
	v_fma_mixlo_f16 v4, v4, v19, 0 op_sel:[0,1,0] op_sel_hi:[0,1,0]
	v_add_f16_e32 v4, v60, v4
	v_pack_b32_f16 v60, v6, v4
	v_fma_mix_f32 v4, v8, v0, 0 op_sel_hi:[1,1,0]
	v_fma_mix_f32 v5, v39, v0, v5 op_sel:[0,1,0] op_sel_hi:[1,1,0]
	v_fma_mix_f32 v4, v13, v0, v4 op_sel:[0,1,0] op_sel_hi:[1,1,0]
	v_fma_mix_f32 v5, v40, v1, v5 op_sel_hi:[1,1,0]
	v_fma_mix_f32 v4, v14, v1, v4 op_sel_hi:[1,1,0]
	v_fma_mix_f32 v5, v41, v1, v5 op_sel:[0,1,0] op_sel_hi:[1,1,0]
	v_fma_mix_f32 v4, v15, v1, v4 op_sel:[0,1,0] op_sel_hi:[1,1,0]
	v_fma_mix_f32 v5, v32, v2, v5 op_sel_hi:[1,1,0]
	;; [unrolled: 4-line block ×3, first 2 shown]
	v_fma_mix_f32 v4, v37, v3, v4 op_sel_hi:[1,1,0]
	v_fma_mix_f32 v5, v44, v3, v5 op_sel:[0,1,0] op_sel_hi:[1,1,0]
	v_fma_mix_f32 v4, v38, v3, v4 op_sel:[0,1,0] op_sel_hi:[1,1,0]
	v_fma_mixlo_f16 v5, v5, v18, 0 op_sel:[0,1,0] op_sel_hi:[0,1,0]
	v_fma_mixlo_f16 v4, v4, v18, 0 op_sel_hi:[0,1,0]
	v_add_f16_e32 v4, v22, v4
	v_add_f16_e32 v5, v34, v5
	v_pack_b32_f16 v15, v4, v5
	v_fma_mix_f32 v4, v45, v0, 0 op_sel_hi:[1,1,0]
	v_fma_mix_f32 v5, v52, v0, 0 op_sel_hi:[1,1,0]
	v_fma_mix_f32 v4, v46, v0, v4 op_sel:[0,1,0] op_sel_hi:[1,1,0]
	v_fma_mix_f32 v0, v53, v0, v5 op_sel:[0,1,0] op_sel_hi:[1,1,0]
	v_fma_mix_f32 v4, v47, v1, v4 op_sel_hi:[1,1,0]
	v_fma_mix_f32 v0, v54, v1, v0 op_sel_hi:[1,1,0]
	v_fma_mix_f32 v4, v48, v1, v4 op_sel:[0,1,0] op_sel_hi:[1,1,0]
	v_fma_mix_f32 v0, v55, v1, v0 op_sel:[0,1,0] op_sel_hi:[1,1,0]
	;; [unrolled: 4-line block ×4, first 2 shown]
	v_fma_mixlo_f16 v4, v4, v19, 0 op_sel_hi:[0,1,0]
	v_fma_mixlo_f16 v0, v0, v19, 0 op_sel:[0,1,0] op_sel_hi:[0,1,0]
	v_add_f16_e32 v4, v23, v4
	v_add_f16_e32 v0, v12, v0
	v_pack_b32_f16 v14, v4, v0
	s_cbranch_scc1 .LBB30_16
.LBB30_14:                              ; =>This Inner Loop Header: Depth=1
	s_cmp_lg_u32 s25, s7
	s_cbranch_scc1 .LBB30_13
; %bb.15:                               ;   in Loop: Header=BB30_14 Depth=1
	s_add_i32 s6, s6, 1
	s_mul_i32 s8, s6, s16
	s_ashr_i32 s9, s8, 31
	s_lshr_b32 s9, s9, 30
	s_add_i32 s9, s8, s9
	s_ashr_i32 s9, s9, 2
	v_add_u32_e32 v0, s9, v24
	v_ashrrev_i32_e32 v1, 31, v0
	v_lshl_add_u64 v[0:1], v[0:1], 2, s[10:11]
	global_load_dword v2, v[0:1], off
	v_add_u32_e32 v0, s8, v16
	v_ashrrev_i32_e32 v1, 31, v0
	v_lshl_add_u64 v[0:1], v[0:1], 1, s[12:13]
	global_load_dwordx2 v[18:19], v[0:1], off
	s_add_i32 s7, s7, s5
	s_waitcnt vmcnt(1)
	v_and_b32_e32 v17, 0xff, v2
	v_bfe_u32 v26, v2, 8, 8
	v_bfe_u32 v27, v2, 16, 8
	v_lshrrev_b32_e32 v28, 24, v2
	s_branch .LBB30_13
.LBB30_16:
	s_mul_i32 s24, s24, s16
	v_add_u32_e32 v0, s24, v16
	v_ashrrev_i32_e32 v1, 31, v0
	v_lshl_add_u64 v[2:3], v[0:1], 1, s[14:15]
	global_load_dword v5, v[2:3], off
	s_mov_b64 s[0:1], 0
.LBB30_17:                              ; =>This Inner Loop Header: Depth=1
	s_waitcnt vmcnt(0)
	v_pk_add_f16 v4, v10, v5
	global_atomic_cmpswap v1, v[2:3], v[4:5], off sc0
	s_waitcnt vmcnt(0)
	v_cmp_eq_u32_e32 vcc, v5, v1
	s_or_b64 s[0:1], vcc, s[0:1]
	v_mov_b32_e32 v5, v1
	s_andn2_b64 exec, exec, s[0:1]
	s_cbranch_execnz .LBB30_17
; %bb.18:
	s_or_b64 exec, exec, s[0:1]
	global_load_dword v5, v[2:3], off offset:4
	s_mov_b64 s[0:1], 0
.LBB30_19:                              ; =>This Inner Loop Header: Depth=1
	s_waitcnt vmcnt(0)
	v_pk_add_f16 v4, v35, v5
	global_atomic_cmpswap v1, v[2:3], v[4:5], off offset:4 sc0
	s_waitcnt vmcnt(0)
	v_cmp_eq_u32_e32 vcc, v5, v1
	s_or_b64 s[0:1], vcc, s[0:1]
	v_mov_b32_e32 v5, v1
	s_andn2_b64 exec, exec, s[0:1]
	s_cbranch_execnz .LBB30_19
; %bb.20:
	s_or_b64 exec, exec, s[0:1]
	v_add_u32_e32 v0, s16, v0
	v_ashrrev_i32_e32 v1, 31, v0
	v_lshl_add_u64 v[2:3], v[0:1], 1, s[14:15]
	global_load_dword v5, v[2:3], off
	s_mov_b64 s[0:1], 0
.LBB30_21:                              ; =>This Inner Loop Header: Depth=1
	s_waitcnt vmcnt(0)
	v_pk_add_f16 v4, v11, v5
	global_atomic_cmpswap v1, v[2:3], v[4:5], off sc0
	s_waitcnt vmcnt(0)
	v_cmp_eq_u32_e32 vcc, v5, v1
	s_or_b64 s[0:1], vcc, s[0:1]
	v_mov_b32_e32 v5, v1
	s_andn2_b64 exec, exec, s[0:1]
	s_cbranch_execnz .LBB30_21
; %bb.22:
	s_or_b64 exec, exec, s[0:1]
	global_load_dword v5, v[2:3], off offset:4
	s_mov_b64 s[0:1], 0
.LBB30_23:                              ; =>This Inner Loop Header: Depth=1
	s_waitcnt vmcnt(0)
	v_pk_add_f16 v4, v61, v5
	global_atomic_cmpswap v1, v[2:3], v[4:5], off offset:4 sc0
	s_waitcnt vmcnt(0)
	v_cmp_eq_u32_e32 vcc, v5, v1
	s_or_b64 s[0:1], vcc, s[0:1]
	v_mov_b32_e32 v5, v1
	s_andn2_b64 exec, exec, s[0:1]
	s_cbranch_execnz .LBB30_23
; %bb.24:
	s_or_b64 exec, exec, s[0:1]
	;; [unrolled: 31-line block ×3, first 2 shown]
	v_add_u32_e32 v0, s16, v0
	v_ashrrev_i32_e32 v1, 31, v0
	v_lshl_add_u64 v[0:1], v[0:1], 1, s[14:15]
	global_load_dword v3, v[0:1], off
	s_mov_b64 s[0:1], 0
.LBB30_29:                              ; =>This Inner Loop Header: Depth=1
	s_waitcnt vmcnt(0)
	v_pk_add_f16 v2, v15, v3
	global_atomic_cmpswap v2, v[0:1], v[2:3], off sc0
	s_waitcnt vmcnt(0)
	v_cmp_eq_u32_e32 vcc, v3, v2
	s_or_b64 s[0:1], vcc, s[0:1]
	v_mov_b32_e32 v3, v2
	s_andn2_b64 exec, exec, s[0:1]
	s_cbranch_execnz .LBB30_29
; %bb.30:
	s_or_b64 exec, exec, s[0:1]
	global_load_dword v3, v[0:1], off offset:4
	s_mov_b64 s[0:1], 0
.LBB30_31:                              ; =>This Inner Loop Header: Depth=1
	s_waitcnt vmcnt(0)
	v_pk_add_f16 v2, v14, v3
	global_atomic_cmpswap v2, v[0:1], v[2:3], off offset:4 sc0
	s_waitcnt vmcnt(0)
	v_cmp_eq_u32_e32 vcc, v3, v2
	s_or_b64 s[0:1], vcc, s[0:1]
	v_mov_b32_e32 v3, v2
	s_andn2_b64 exec, exec, s[0:1]
	s_cbranch_execnz .LBB30_31
.LBB30_32:
	s_endpgm
	.section	.rodata,"a",@progbits
	.p2align	6, 0x0
	.amdhsa_kernel _ZN4vllm4gptq33gemm_half_q_half_gptq_8bit_kernelILb1ELi4EEEvPK6__halfPKjS6_S4_PS2_iiiibPKi
		.amdhsa_group_segment_fixed_size 1024
		.amdhsa_private_segment_fixed_size 0
		.amdhsa_kernarg_size 72
		.amdhsa_user_sgpr_count 2
		.amdhsa_user_sgpr_dispatch_ptr 0
		.amdhsa_user_sgpr_queue_ptr 0
		.amdhsa_user_sgpr_kernarg_segment_ptr 1
		.amdhsa_user_sgpr_dispatch_id 0
		.amdhsa_user_sgpr_kernarg_preload_length 0
		.amdhsa_user_sgpr_kernarg_preload_offset 0
		.amdhsa_user_sgpr_private_segment_size 0
		.amdhsa_uses_dynamic_stack 0
		.amdhsa_enable_private_segment 0
		.amdhsa_system_sgpr_workgroup_id_x 1
		.amdhsa_system_sgpr_workgroup_id_y 1
		.amdhsa_system_sgpr_workgroup_id_z 1
		.amdhsa_system_sgpr_workgroup_info 0
		.amdhsa_system_vgpr_workitem_id 0
		.amdhsa_next_free_vgpr 87
		.amdhsa_next_free_sgpr 27
		.amdhsa_accum_offset 88
		.amdhsa_reserve_vcc 1
		.amdhsa_float_round_mode_32 0
		.amdhsa_float_round_mode_16_64 0
		.amdhsa_float_denorm_mode_32 3
		.amdhsa_float_denorm_mode_16_64 3
		.amdhsa_dx10_clamp 1
		.amdhsa_ieee_mode 1
		.amdhsa_fp16_overflow 0
		.amdhsa_tg_split 0
		.amdhsa_exception_fp_ieee_invalid_op 0
		.amdhsa_exception_fp_denorm_src 0
		.amdhsa_exception_fp_ieee_div_zero 0
		.amdhsa_exception_fp_ieee_overflow 0
		.amdhsa_exception_fp_ieee_underflow 0
		.amdhsa_exception_fp_ieee_inexact 0
		.amdhsa_exception_int_div_zero 0
	.end_amdhsa_kernel
	.section	.text._ZN4vllm4gptq33gemm_half_q_half_gptq_8bit_kernelILb1ELi4EEEvPK6__halfPKjS6_S4_PS2_iiiibPKi,"axG",@progbits,_ZN4vllm4gptq33gemm_half_q_half_gptq_8bit_kernelILb1ELi4EEEvPK6__halfPKjS6_S4_PS2_iiiibPKi,comdat
.Lfunc_end30:
	.size	_ZN4vllm4gptq33gemm_half_q_half_gptq_8bit_kernelILb1ELi4EEEvPK6__halfPKjS6_S4_PS2_iiiibPKi, .Lfunc_end30-_ZN4vllm4gptq33gemm_half_q_half_gptq_8bit_kernelILb1ELi4EEEvPK6__halfPKjS6_S4_PS2_iiiibPKi
                                        ; -- End function
	.set _ZN4vllm4gptq33gemm_half_q_half_gptq_8bit_kernelILb1ELi4EEEvPK6__halfPKjS6_S4_PS2_iiiibPKi.num_vgpr, 87
	.set _ZN4vllm4gptq33gemm_half_q_half_gptq_8bit_kernelILb1ELi4EEEvPK6__halfPKjS6_S4_PS2_iiiibPKi.num_agpr, 0
	.set _ZN4vllm4gptq33gemm_half_q_half_gptq_8bit_kernelILb1ELi4EEEvPK6__halfPKjS6_S4_PS2_iiiibPKi.numbered_sgpr, 27
	.set _ZN4vllm4gptq33gemm_half_q_half_gptq_8bit_kernelILb1ELi4EEEvPK6__halfPKjS6_S4_PS2_iiiibPKi.num_named_barrier, 0
	.set _ZN4vllm4gptq33gemm_half_q_half_gptq_8bit_kernelILb1ELi4EEEvPK6__halfPKjS6_S4_PS2_iiiibPKi.private_seg_size, 0
	.set _ZN4vllm4gptq33gemm_half_q_half_gptq_8bit_kernelILb1ELi4EEEvPK6__halfPKjS6_S4_PS2_iiiibPKi.uses_vcc, 1
	.set _ZN4vllm4gptq33gemm_half_q_half_gptq_8bit_kernelILb1ELi4EEEvPK6__halfPKjS6_S4_PS2_iiiibPKi.uses_flat_scratch, 0
	.set _ZN4vllm4gptq33gemm_half_q_half_gptq_8bit_kernelILb1ELi4EEEvPK6__halfPKjS6_S4_PS2_iiiibPKi.has_dyn_sized_stack, 0
	.set _ZN4vllm4gptq33gemm_half_q_half_gptq_8bit_kernelILb1ELi4EEEvPK6__halfPKjS6_S4_PS2_iiiibPKi.has_recursion, 0
	.set _ZN4vllm4gptq33gemm_half_q_half_gptq_8bit_kernelILb1ELi4EEEvPK6__halfPKjS6_S4_PS2_iiiibPKi.has_indirect_call, 0
	.section	.AMDGPU.csdata,"",@progbits
; Kernel info:
; codeLenInByte = 9708
; TotalNumSgprs: 33
; NumVgprs: 87
; NumAgprs: 0
; TotalNumVgprs: 87
; ScratchSize: 0
; MemoryBound: 0
; FloatMode: 240
; IeeeMode: 1
; LDSByteSize: 1024 bytes/workgroup (compile time only)
; SGPRBlocks: 4
; VGPRBlocks: 10
; NumSGPRsForWavesPerEU: 33
; NumVGPRsForWavesPerEU: 87
; AccumOffset: 88
; Occupancy: 5
; WaveLimiterHint : 0
; COMPUTE_PGM_RSRC2:SCRATCH_EN: 0
; COMPUTE_PGM_RSRC2:USER_SGPR: 2
; COMPUTE_PGM_RSRC2:TRAP_HANDLER: 0
; COMPUTE_PGM_RSRC2:TGID_X_EN: 1
; COMPUTE_PGM_RSRC2:TGID_Y_EN: 1
; COMPUTE_PGM_RSRC2:TGID_Z_EN: 1
; COMPUTE_PGM_RSRC2:TIDIG_COMP_CNT: 0
; COMPUTE_PGM_RSRC3_GFX90A:ACCUM_OFFSET: 21
; COMPUTE_PGM_RSRC3_GFX90A:TG_SPLIT: 0
	.section	.text._ZN4vllm4gptq33gemm_half_q_half_gptq_2bit_kernelILb1ELi5EEEvPK6__halfPKjS6_S4_PS2_iiiibPKi,"axG",@progbits,_ZN4vllm4gptq33gemm_half_q_half_gptq_2bit_kernelILb1ELi5EEEvPK6__halfPKjS6_S4_PS2_iiiibPKi,comdat
	.protected	_ZN4vllm4gptq33gemm_half_q_half_gptq_2bit_kernelILb1ELi5EEEvPK6__halfPKjS6_S4_PS2_iiiibPKi ; -- Begin function _ZN4vllm4gptq33gemm_half_q_half_gptq_2bit_kernelILb1ELi5EEEvPK6__halfPKjS6_S4_PS2_iiiibPKi
	.globl	_ZN4vllm4gptq33gemm_half_q_half_gptq_2bit_kernelILb1ELi5EEEvPK6__halfPKjS6_S4_PS2_iiiibPKi
	.p2align	8
	.type	_ZN4vllm4gptq33gemm_half_q_half_gptq_2bit_kernelILb1ELi5EEEvPK6__halfPKjS6_S4_PS2_iiiibPKi,@function
_ZN4vllm4gptq33gemm_half_q_half_gptq_2bit_kernelILb1ELi5EEEvPK6__halfPKjS6_S4_PS2_iiiibPKi: ; @_ZN4vllm4gptq33gemm_half_q_half_gptq_2bit_kernelILb1ELi5EEEvPK6__halfPKjS6_S4_PS2_iiiibPKi
; %bb.0:
	s_load_dwordx8 s[8:15], s[0:1], 0x8
	s_load_dwordx4 s[16:19], s[0:1], 0x2c
	s_lshl_b32 s24, s4, 7
	s_add_i32 s4, s24, 0x80
	v_cvt_f64_u32_e32 v[2:3], s4
	s_mul_i32 s3, s3, 5
	s_waitcnt lgkmcnt(0)
	v_cvt_f64_i32_e32 v[4:5], s17
	v_min_f64 v[2:3], v[2:3], v[4:5]
	v_cvt_i32_f64_e32 v1, v[2:3]
	v_add_u32_e32 v2, s24, v0
	v_readfirstlane_b32 s25, v1
	v_cmp_lt_u32_e32 vcc, v2, v1
	s_and_saveexec_b64 s[4:5], vcc
	s_cbranch_execz .LBB31_12
; %bb.1:
	s_load_dwordx2 s[22:23], s[0:1], 0x40
	s_load_dwordx2 s[6:7], s[0:1], 0x0
	v_mov_b32_e32 v3, 0
	v_mov_b64_e32 v[6:7], v[2:3]
	s_waitcnt lgkmcnt(0)
	s_cmp_lg_u64 s[22:23], 0
	s_cselect_b64 s[20:21], -1, 0
	s_cmp_eq_u64 s[22:23], 0
	v_lshl_add_u64 v[4:5], v[2:3], 2, s[22:23]
	s_cbranch_scc1 .LBB31_3
; %bb.2:
	global_load_dword v6, v[4:5], off
	s_waitcnt vmcnt(0)
	v_ashrrev_i32_e32 v7, 31, v6
.LBB31_3:
	s_mul_i32 s22, s3, s17
	s_ashr_i32 s23, s22, 31
	s_lshl_b64 s[0:1], s[22:23], 1
	s_add_u32 s0, s6, s0
	s_addc_u32 s1, s7, s1
	v_lshl_add_u64 v[6:7], v[6:7], 1, s[0:1]
	global_load_ushort v6, v[6:7], off
	v_lshlrev_b32_e32 v1, 1, v0
	v_cndmask_b32_e64 v7, 0, 1, s[20:21]
	v_cmp_ne_u32_e64 s[0:1], 1, v7
	s_andn2_b64 vcc, exec, s[20:21]
	s_waitcnt vmcnt(0)
	ds_write_b16 v1, v6
	v_mov_b64_e32 v[6:7], v[2:3]
	s_cbranch_vccnz .LBB31_5
; %bb.4:
	global_load_dword v6, v[4:5], off
	s_waitcnt vmcnt(0)
	v_ashrrev_i32_e32 v7, 31, v6
.LBB31_5:
	s_add_i32 s20, s22, s17
	s_ashr_i32 s21, s20, 31
	s_lshl_b64 s[22:23], s[20:21], 1
	s_add_u32 s22, s6, s22
	s_addc_u32 s23, s7, s23
	v_lshl_add_u64 v[6:7], v[6:7], 1, s[22:23]
	global_load_ushort v6, v[6:7], off
	s_and_b64 vcc, exec, s[0:1]
	s_waitcnt vmcnt(0)
	ds_write_b16 v1, v6 offset:256
	v_mov_b64_e32 v[6:7], v[2:3]
	s_cbranch_vccnz .LBB31_7
; %bb.6:
	global_load_dword v6, v[4:5], off
	s_waitcnt vmcnt(0)
	v_ashrrev_i32_e32 v7, 31, v6
.LBB31_7:
	s_add_i32 s20, s20, s17
	s_ashr_i32 s21, s20, 31
	s_lshl_b64 s[22:23], s[20:21], 1
	s_add_u32 s22, s6, s22
	s_addc_u32 s23, s7, s23
	v_lshl_add_u64 v[6:7], v[6:7], 1, s[22:23]
	global_load_ushort v6, v[6:7], off
	s_and_b64 vcc, exec, s[0:1]
	s_waitcnt vmcnt(0)
	ds_write_b16 v1, v6 offset:512
	;; [unrolled: 17-line block ×3, first 2 shown]
	s_cbranch_vccnz .LBB31_11
; %bb.10:
	global_load_dword v2, v[4:5], off
	s_waitcnt vmcnt(0)
	v_ashrrev_i32_e32 v3, 31, v2
.LBB31_11:
	s_add_i32 s0, s20, s17
	s_ashr_i32 s1, s0, 31
	s_lshl_b64 s[0:1], s[0:1], 1
	s_add_u32 s0, s6, s0
	s_addc_u32 s1, s7, s1
	v_lshl_add_u64 v[2:3], v[2:3], 1, s[0:1]
	global_load_ushort v2, v[2:3], off
	s_waitcnt vmcnt(0)
	ds_write_b16 v1, v2 offset:1024
.LBB31_12:
	s_or_b64 exec, exec, s[4:5]
	v_lshlrev_b32_e32 v1, 2, v0
	v_lshl_add_u32 v4, s2, 9, v1
	v_cmp_gt_i32_e32 vcc, s16, v4
	s_and_saveexec_b64 s[0:1], vcc
	s_cbranch_execz .LBB31_38
; %bb.13:
	s_abs_i32 s0, s18
	v_cvt_f32_u32_e32 v1, s0
	s_mov_b32 s2, 0
	v_mov_b32_e32 v28, 0
	v_mov_b32_e32 v26, 0
	v_rcp_iflag_f32_e32 v1, v1
	v_mov_b32_e32 v25, 0
	v_mov_b32_e32 v24, 0
	s_cmp_ge_i32 s24, s25
	v_mul_f32_e32 v1, 0x4f7ffffe, v1
	v_cvt_u32_f32_e32 v1, v1
	v_mov_b32_e32 v23, 0
	v_mov_b32_e32 v22, 0
	;; [unrolled: 1-line block ×3, first 2 shown]
	v_readfirstlane_b32 s1, v1
	v_mov_b32_e32 v20, 0
	v_mov_b32_e32 v19, 0
	v_mov_b32_e32 v18, 0
	s_waitcnt lgkmcnt(0)
	s_barrier
	s_cbranch_scc1 .LBB31_18
; %bb.14:
	s_sub_i32 s7, 0, s0
	s_mul_i32 s7, s7, s1
	s_mul_hi_u32 s7, s1, s7
	s_abs_i32 s6, s17
	s_add_i32 s1, s1, s7
	s_ashr_i32 s4, s17, 31
	s_ashr_i32 s5, s18, 31
	s_mul_hi_u32 s1, s6, s1
	s_xor_b32 s4, s4, s5
	s_mul_i32 s5, s1, s0
	s_sub_i32 s5, s6, s5
	s_add_i32 s6, s1, 1
	s_sub_i32 s7, s5, s0
	s_cmp_ge_u32 s5, s0
	s_cselect_b32 s1, s6, s1
	s_cselect_b32 s5, s7, s5
	s_add_i32 s6, s1, 1
	s_cmp_ge_u32 s5, s0
	s_cselect_b32 s0, s6, s1
	s_xor_b32 s0, s0, s4
	s_sub_i32 s4, s0, s4
	v_cvt_f32_u32_e32 v1, s4
	s_bitcmp1_b32 s19, 0
	s_cselect_b64 s[0:1], -1, 0
	s_sub_i32 s5, 0, s4
	v_rcp_iflag_f32_e32 v1, v1
	s_xor_b64 s[0:1], s[0:1], -1
	v_ashrrev_i32_e32 v5, 31, v4
	v_lshrrev_b32_e32 v2, 28, v5
	v_mul_f32_e32 v1, 0x4f7ffffe, v1
	v_cvt_u32_f32_e32 v1, v1
	v_add_u32_e32 v2, v4, v2
	v_ashrrev_i32_e32 v27, 4, v2
	v_cndmask_b32_e64 v31, 0, 1, s[0:1]
	v_readfirstlane_b32 s6, v1
	s_mul_i32 s5, s5, s6
	s_mul_hi_u32 s5, s6, s5
	s_add_i32 s6, s6, s5
	s_mul_hi_u32 s5, s24, s6
	s_mul_i32 s6, s5, s4
	s_sub_i32 s6, s24, s6
	s_add_i32 s7, s5, 1
	s_sub_i32 s17, s6, s4
	s_cmp_ge_u32 s6, s4
	s_cselect_b32 s5, s7, s5
	s_cselect_b32 s6, s17, s6
	s_add_i32 s7, s5, 1
	s_cmp_ge_u32 s6, s4
	s_cselect_b32 s5, s7, s5
	s_mul_i32 s6, s5, s16
	s_ashr_i32 s7, s6, 31
	s_lshr_b32 s7, s7, 28
	s_add_i32 s7, s6, s7
	s_ashr_i32 s7, s7, 4
	v_add_u32_e32 v2, s7, v27
	v_ashrrev_i32_e32 v3, 31, v2
	v_lshl_add_u64 v[2:3], v[2:3], 2, s[10:11]
	global_load_dword v10, v[2:3], off
	v_add_u32_e32 v2, s6, v4
	v_ashrrev_i32_e32 v3, 31, v2
	v_lshl_add_u64 v[2:3], v[2:3], 1, s[12:13]
	global_load_dwordx2 v[6:7], v[2:3], off
	s_lshr_b32 s0, s24, 4
	s_mul_i32 s0, s16, s0
	s_ashr_i32 s1, s0, 31
	s_add_i32 s21, s4, s24
	s_ashr_i32 s17, s16, 31
	s_lshl_b64 s[0:1], s[0:1], 2
	s_add_u32 s8, s8, s0
	s_addc_u32 s9, s9, s1
	v_lshlrev_b32_e32 v2, 3, v0
	v_lshl_add_u64 v[0:1], v[4:5], 2, s[8:9]
	v_and_b32_e32 v30, 24, v2
	v_lshl_add_u64 v[8:9], v[0:1], 0, 8
	v_mov_b32_e32 v18, 0
	s_mov_b32 s6, 0x10001
	v_mov_b32_e32 v29, 0xe400e400
	s_movk_i32 s7, 0x3400
	s_movk_i32 s18, 0x2c00
	;; [unrolled: 1-line block ×3, first 2 shown]
	s_mov_b32 s20, 0x7060302
	v_mov_b32_e32 v19, 0
	v_mov_b32_e32 v20, 0
	v_mov_b32_e32 v21, 0
	v_mov_b32_e32 v22, 0
	v_mov_b32_e32 v23, 0
	v_mov_b32_e32 v24, 0
	v_mov_b32_e32 v25, 0
	v_mov_b32_e32 v26, 0
	s_lshl_b64 s[0:1], s[16:17], 2
	v_mov_b32_e32 v28, 0
	s_waitcnt vmcnt(1)
	v_lshrrev_b32_e32 v0, v2, v10
	v_bfe_u32 v5, v10, v30, 2
	v_bfe_u32 v32, v0, 2, 2
	;; [unrolled: 1-line block ×4, first 2 shown]
	s_branch .LBB31_16
.LBB31_15:                              ;   in Loop: Header=BB31_16 Depth=1
	global_load_dwordx4 v[0:3], v[8:9], off offset:-8
	v_add_u32_e32 v10, v5, v31
	v_add_u32_e32 v11, v32, v31
	;; [unrolled: 1-line block ×4, first 2 shown]
	v_cvt_f32_i32_e32 v36, v10
	v_cvt_f32_i32_e32 v38, v11
	;; [unrolled: 1-line block ×4, first 2 shown]
	v_and_b32_e32 v37, 0x1bff, v10
	v_and_b32_e32 v41, 0x1bff, v12
	v_mad_u32_u24 v44, v37, s6, v29
	v_mad_u32_u24 v52, v41, s6, v29
	v_cvt_f16_f32_e32 v36, v36
	v_cvt_f16_f32_e32 v37, v38
	v_cvt_f16_f32_e32 v40, v40
	v_cvt_f16_f32_e32 v41, v42
	v_and_b32_e32 v39, 0x1bff, v11
	v_and_b32_e32 v43, 0x1bff, v13
	v_mad_u32_u24 v45, v39, s6, v29
	v_mad_u32_u24 v53, v43, s6, v29
	v_sub_f16_e32 v38, 0xdc00, v36
	v_sub_f16_e32 v39, 0xdc00, v37
	;; [unrolled: 1-line block ×6, first 2 shown]
	v_mov_b32_e32 v35, s2
	v_sub_f16_e32 v47, 0xd400, v37
	v_sub_f16_e32 v48, 0xcc00, v37
	v_mul_u32_u24_e32 v49, 0x10001, v38
	v_mul_u32_u24_e32 v54, 0x10001, v39
	;; [unrolled: 1-line block ×5, first 2 shown]
	ds_read2_b32 v[16:17], v35 offset1:1
	ds_read2_b32 v[14:15], v35 offset0:2 offset1:3
	ds_read2_b32 v[12:13], v35 offset0:4 offset1:5
	;; [unrolled: 1-line block ×3, first 2 shown]
	v_mul_u32_u24_e32 v57, 0x10001, v46
	v_mul_u32_u24_e32 v59, 0x10001, v47
	;; [unrolled: 1-line block ×3, first 2 shown]
	s_add_i32 s8, s2, 0x400
	s_add_i32 s9, s2, 0x408
	;; [unrolled: 1-line block ×6, first 2 shown]
	s_cmp_ge_i32 s24, s25
	v_lshl_add_u64 v[8:9], v[8:9], 0, s[0:1]
	s_waitcnt vmcnt(0)
	v_and_b32_e32 v36, 0x30003, v0
	v_and_b32_e32 v37, 0xc000c, v0
	v_and_b32_e32 v42, 0x300030, v0
	v_and_b32_e32 v43, 0xc000c0, v0
	v_lshrrev_b32_e32 v60, 8, v0
	v_and_b32_e32 v0, 0x30003, v1
	v_and_b32_e32 v38, 0xc000c, v1
	v_and_b32_e32 v50, 0x300030, v1
	v_and_b32_e32 v51, 0xc000c0, v1
	v_lshrrev_b32_e32 v61, 8, v1
	;; [unrolled: 5-line block ×4, first 2 shown]
	v_or_b32_e32 v3, 0x64006400, v36
	v_or_b32_e32 v36, 0x64006400, v37
	;; [unrolled: 1-line block ×8, first 2 shown]
	v_pk_add_f16 v38, v44, v3
	v_pk_fma_f16 v39, v36, s7, v49 op_sel_hi:[1,0,1]
	v_pk_add_f16 v36, v45, v0
	v_pk_add_f16 v2, v52, v1
	;; [unrolled: 1-line block ×3, first 2 shown]
	v_pk_fma_f16 v3, v47, s7, v55 op_sel_hi:[1,0,1]
	v_pk_fma_f16 v1, v46, s7, v56 op_sel_hi:[1,0,1]
	s_waitcnt lgkmcnt(3)
	v_pk_fma_f16 v46, v38, v16, 0
	v_pk_fma_f16 v47, v36, v16, 0
	;; [unrolled: 1-line block ×4, first 2 shown]
	v_pk_fma_f16 v37, v37, s7, v54 op_sel_hi:[1,0,1]
	v_pk_fma_f16 v71, v1, v17, v16
	v_sub_f16_e32 v16, 0xd400, v40
	v_pk_fma_f16 v69, v39, v17, v46
	v_pk_fma_f16 v70, v37, v17, v47
	;; [unrolled: 1-line block ×3, first 2 shown]
	v_sub_f16_e32 v17, 0xcc00, v40
	v_mul_u32_u24_e32 v73, 0x10001, v16
	v_sub_f16_e32 v16, 0xd400, v41
	v_mul_u32_u24_e32 v74, 0x10001, v17
	;; [unrolled: 2-line block ×3, first 2 shown]
	v_or_b32_e32 v16, 0x64006400, v42
	v_mul_u32_u24_e32 v76, 0x10001, v17
	v_or_b32_e32 v17, 0x64006400, v43
	v_pk_fma_f16 v46, v16, s18, v57 op_sel_hi:[1,0,1]
	v_or_b32_e32 v16, 0x64006400, v50
	v_pk_fma_f16 v47, v17, s19, v58 op_sel_hi:[1,0,1]
	;; [unrolled: 2-line block ×5, first 2 shown]
	v_or_b32_e32 v16, 0x64006400, v65
	s_waitcnt lgkmcnt(2)
	v_pk_fma_f16 v48, v46, v14, v69
	v_pk_fma_f16 v41, v17, s19, v74 op_sel_hi:[1,0,1]
	v_or_b32_e32 v17, 0x64006400, v66
	v_pk_fma_f16 v16, v16, s18, v75 op_sel_hi:[1,0,1]
	v_pk_fma_f16 v62, v47, v15, v48
	v_pk_fma_f16 v48, v42, v14, v70
	v_pk_fma_f16 v17, v17, s19, v76 op_sel_hi:[1,0,1]
	v_pk_fma_f16 v63, v43, v15, v48
	v_pk_fma_f16 v48, v40, v14, v68
	;; [unrolled: 1-line block ×5, first 2 shown]
	v_and_b32_e32 v14, 0x30003, v60
	v_or_b32_e32 v14, 0x64006400, v14
	v_pk_add_f16 v50, v44, v14
	v_and_b32_e32 v14, 0xc000c, v60
	v_or_b32_e32 v14, 0x64006400, v14
	v_pk_fma_f16 v51, v14, s7, v49 op_sel_hi:[1,0,1]
	v_and_b32_e32 v14, 0x30003, v61
	v_or_b32_e32 v14, 0x64006400, v14
	v_pk_add_f16 v48, v45, v14
	v_and_b32_e32 v14, 0xc000c, v61
	v_or_b32_e32 v14, 0x64006400, v14
	v_pk_fma_f16 v49, v14, s7, v54 op_sel_hi:[1,0,1]
	;; [unrolled: 6-line block ×3, first 2 shown]
	v_and_b32_e32 v14, 0x30003, v67
	v_or_b32_e32 v14, 0x64006400, v14
	v_and_b32_e32 v44, 0xc000c, v67
	s_waitcnt lgkmcnt(1)
	v_pk_fma_f16 v52, v50, v12, v62
	v_pk_add_f16 v14, v53, v14
	v_or_b32_e32 v44, 0x64006400, v44
	v_pk_fma_f16 v54, v51, v13, v52
	v_pk_fma_f16 v52, v48, v12, v63
	v_pk_fma_f16 v44, v44, s7, v56 op_sel_hi:[1,0,1]
	v_pk_fma_f16 v62, v49, v13, v52
	v_pk_fma_f16 v52, v15, v12, v65
	;; [unrolled: 1-line block ×5, first 2 shown]
	v_and_b32_e32 v12, 0x300030, v60
	v_or_b32_e32 v12, 0x64006400, v12
	v_pk_fma_f16 v56, v12, s18, v57 op_sel_hi:[1,0,1]
	v_and_b32_e32 v12, 0xc000c0, v60
	v_or_b32_e32 v12, 0x64006400, v12
	v_pk_fma_f16 v58, v12, s19, v58 op_sel_hi:[1,0,1]
	;; [unrolled: 3-line block ×4, first 2 shown]
	v_and_b32_e32 v12, 0x300030, v64
	v_or_b32_e32 v12, 0x64006400, v12
	s_waitcnt lgkmcnt(0)
	v_pk_fma_f16 v54, v56, v10, v54
	v_pk_fma_f16 v13, v12, s18, v73 op_sel_hi:[1,0,1]
	v_and_b32_e32 v12, 0xc000c0, v64
	v_pk_fma_f16 v59, v58, v11, v54
	v_pk_fma_f16 v54, v55, v10, v62
	v_or_b32_e32 v12, 0x64006400, v12
	v_pk_fma_f16 v60, v57, v11, v54
	v_pk_fma_f16 v54, v13, v10, v63
	ds_read2_b32 v[62:63], v35 offset0:64 offset1:65
	v_pk_fma_f16 v53, v12, s19, v74 op_sel_hi:[1,0,1]
	v_and_b32_e32 v12, 0x300030, v67
	v_or_b32_e32 v12, 0x64006400, v12
	v_pk_fma_f16 v12, v12, s18, v75 op_sel_hi:[1,0,1]
	v_and_b32_e32 v52, 0xc000c0, v67
	v_or_b32_e32 v52, 0x64006400, v52
	v_pk_fma_f16 v10, v12, v10, v65
	ds_read2_b32 v[64:65], v35 offset0:66 offset1:67
	ds_read2_b32 v[66:67], v35 offset0:68 offset1:69
	;; [unrolled: 1-line block ×3, first 2 shown]
	v_pk_fma_f16 v52, v52, s19, v76 op_sel_hi:[1,0,1]
	s_waitcnt lgkmcnt(3)
	v_pk_fma_f16 v70, v2, v62, 0
	v_pk_fma_f16 v54, v53, v11, v54
	;; [unrolled: 1-line block ×10, first 2 shown]
	s_waitcnt lgkmcnt(2)
	v_pk_fma_f16 v63, v40, v64, v70
	v_pk_fma_f16 v62, v16, v64, v62
	;; [unrolled: 1-line block ×4, first 2 shown]
	s_waitcnt lgkmcnt(1)
	v_pk_fma_f16 v63, v15, v66, v63
	v_pk_fma_f16 v62, v14, v66, v62
	v_pk_fma_f16 v63, v45, v67, v63
	v_pk_fma_f16 v11, v46, v64, v11
	v_pk_fma_f16 v61, v42, v64, v61
	v_pk_fma_f16 v62, v44, v67, v62
	s_waitcnt lgkmcnt(0)
	v_pk_fma_f16 v63, v13, v68, v63
	v_pk_fma_f16 v11, v47, v65, v11
	;; [unrolled: 1-line block ×5, first 2 shown]
	ds_read2_b32 v[62:63], v35 offset0:128 offset1:129
	v_pk_fma_f16 v11, v50, v66, v11
	v_pk_fma_f16 v61, v48, v66, v61
	;; [unrolled: 1-line block ×9, first 2 shown]
	ds_read2_b32 v[64:65], v35 offset0:130 offset1:131
	ds_read2_b32 v[66:67], v35 offset0:132 offset1:133
	;; [unrolled: 1-line block ×3, first 2 shown]
	s_waitcnt lgkmcnt(3)
	v_pk_fma_f16 v72, v38, v62, 0
	v_pk_fma_f16 v73, v36, v62, 0
	;; [unrolled: 1-line block ×8, first 2 shown]
	s_waitcnt lgkmcnt(2)
	v_pk_fma_f16 v63, v46, v64, v72
	v_pk_fma_f16 v72, v42, v64, v73
	;; [unrolled: 1-line block ×5, first 2 shown]
	s_waitcnt lgkmcnt(1)
	v_pk_fma_f16 v63, v50, v66, v63
	v_pk_fma_f16 v73, v41, v65, v73
	;; [unrolled: 1-line block ×8, first 2 shown]
	s_waitcnt lgkmcnt(0)
	v_pk_fma_f16 v63, v56, v68, v63
	v_pk_fma_f16 v65, v45, v67, v65
	;; [unrolled: 1-line block ×10, first 2 shown]
	ds_read2_b32 v[62:63], v35 offset0:192 offset1:193
	v_pk_fma_f16 v75, v52, v69, v64
	ds_read2_b32 v[64:65], v35 offset0:194 offset1:195
	ds_read2_b32 v[66:67], v35 offset0:196 offset1:197
	;; [unrolled: 1-line block ×3, first 2 shown]
	s_waitcnt lgkmcnt(3)
	v_pk_fma_f16 v35, v38, v62, 0
	v_pk_fma_f16 v76, v36, v62, 0
	;; [unrolled: 1-line block ×8, first 2 shown]
	s_waitcnt lgkmcnt(2)
	v_pk_fma_f16 v63, v42, v64, v76
	v_pk_fma_f16 v62, v16, v64, v62
	;; [unrolled: 1-line block ×6, first 2 shown]
	s_waitcnt lgkmcnt(1)
	v_pk_fma_f16 v63, v48, v66, v63
	v_pk_fma_f16 v62, v14, v66, v62
	;; [unrolled: 1-line block ×7, first 2 shown]
	s_waitcnt lgkmcnt(0)
	v_pk_fma_f16 v63, v55, v68, v63
	v_pk_fma_f16 v62, v12, v68, v62
	;; [unrolled: 1-line block ×5, first 2 shown]
	v_mov_b32_e32 v62, s8
	v_pk_fma_f16 v77, v53, v69, v63
	ds_read2_b32 v[62:63], v62 offset1:1
	v_pk_fma_f16 v35, v47, v65, v35
	v_mov_b32_e32 v64, s9
	v_pk_fma_f16 v35, v50, v66, v35
	v_mov_b32_e32 v66, s17
	v_pk_fma_f16 v35, v51, v67, v35
	s_waitcnt lgkmcnt(0)
	v_pk_fma_f16 v38, v38, v62, 0
	v_pk_fma_f16 v35, v56, v68, v35
	v_mov_b32_e32 v68, s22
	v_pk_fma_f16 v35, v58, v69, v35
	ds_read2_b32 v[64:65], v64 offset1:1
	ds_read2_b32 v[66:67], v66 offset1:1
	;; [unrolled: 1-line block ×3, first 2 shown]
	v_pk_fma_f16 v36, v36, v62, 0
	v_pk_fma_f16 v2, v2, v62, 0
	;; [unrolled: 1-line block ×5, first 2 shown]
	v_pack_b32_f16 v37, v59, v60
	v_perm_b32 v39, v60, v59, s20
	v_pk_fma_f16 v2, v3, v63, v2
	v_pk_fma_f16 v0, v1, v63, v0
	v_pack_b32_f16 v1, v54, v10
	v_perm_b32 v3, v10, v54, s20
	v_pk_add_f16 v37, v37, v39
	v_pk_add_f16 v1, v1, v3
	s_waitcnt lgkmcnt(2)
	v_pk_fma_f16 v38, v46, v64, v38
	v_pk_fma_f16 v36, v42, v64, v36
	v_pk_fma_f16 v28, v37, v6, v28
	v_pack_b32_f16 v37, v11, v61
	v_perm_b32 v11, v61, v11, s20
	v_pk_fma_f16 v2, v40, v64, v2
	v_pk_fma_f16 v0, v16, v64, v0
	v_pk_fma_f16 v26, v1, v7, v26
	v_pack_b32_f16 v1, v70, v71
	v_perm_b32 v3, v71, v70, s20
	v_pk_fma_f16 v38, v47, v65, v38
	v_pk_fma_f16 v36, v43, v65, v36
	v_pk_add_f16 v11, v37, v11
	v_pk_fma_f16 v2, v41, v65, v2
	v_pk_fma_f16 v0, v17, v65, v0
	v_pk_add_f16 v1, v1, v3
	s_waitcnt lgkmcnt(1)
	v_pk_fma_f16 v38, v50, v66, v38
	v_pk_fma_f16 v36, v48, v66, v36
	v_pk_fma_f16 v25, v11, v6, v25
	v_pack_b32_f16 v11, v72, v73
	v_perm_b32 v37, v73, v72, s20
	v_pk_fma_f16 v2, v15, v66, v2
	v_pk_fma_f16 v0, v14, v66, v0
	v_pk_fma_f16 v24, v1, v7, v24
	v_pack_b32_f16 v1, v74, v75
	v_perm_b32 v3, v75, v74, s20
	v_pk_fma_f16 v38, v51, v67, v38
	v_pk_fma_f16 v36, v49, v67, v36
	v_pk_add_f16 v11, v11, v37
	v_pk_fma_f16 v2, v45, v67, v2
	v_pk_fma_f16 v0, v44, v67, v0
	;; [unrolled: 17-line block ×3, first 2 shown]
	v_pk_add_f16 v1, v1, v3
	v_pk_fma_f16 v21, v11, v6, v21
	v_pack_b32_f16 v11, v38, v36
	v_perm_b32 v35, v36, v38, s20
	v_pk_fma_f16 v20, v1, v7, v20
	v_pack_b32_f16 v1, v2, v0
	v_perm_b32 v0, v0, v2, s20
	v_pk_add_f16 v11, v11, v35
	v_pk_add_f16 v0, v1, v0
	v_pk_fma_f16 v19, v11, v6, v19
	v_pk_fma_f16 v18, v0, v7, v18
	s_cbranch_scc1 .LBB31_18
.LBB31_16:                              ; =>This Inner Loop Header: Depth=1
	s_cmp_lg_u32 s24, s21
	s_cbranch_scc1 .LBB31_15
; %bb.17:                               ;   in Loop: Header=BB31_16 Depth=1
	s_add_i32 s5, s5, 1
	s_mul_i32 s8, s5, s16
	s_ashr_i32 s9, s8, 31
	s_lshr_b32 s9, s9, 28
	s_add_i32 s9, s8, s9
	s_ashr_i32 s9, s9, 4
	v_add_u32_e32 v0, s9, v27
	v_ashrrev_i32_e32 v1, 31, v0
	v_lshl_add_u64 v[0:1], v[0:1], 2, s[10:11]
	global_load_dword v2, v[0:1], off
	v_add_u32_e32 v0, s8, v4
	v_ashrrev_i32_e32 v1, 31, v0
	v_lshl_add_u64 v[0:1], v[0:1], 1, s[12:13]
	global_load_dwordx2 v[6:7], v[0:1], off
	s_add_i32 s21, s21, s4
	s_waitcnt vmcnt(1)
	v_lshrrev_b32_e32 v0, v30, v2
	v_bfe_u32 v5, v2, v30, 2
	v_bfe_u32 v32, v0, 2, 2
	;; [unrolled: 1-line block ×4, first 2 shown]
	s_branch .LBB31_15
.LBB31_18:
	s_mul_i32 s3, s3, s16
	v_add_u32_e32 v0, s3, v4
	v_ashrrev_i32_e32 v1, 31, v0
	v_lshl_add_u64 v[2:3], v[0:1], 1, s[14:15]
	global_load_dword v5, v[2:3], off
	s_mov_b64 s[0:1], 0
.LBB31_19:                              ; =>This Inner Loop Header: Depth=1
	s_waitcnt vmcnt(0)
	v_pk_add_f16 v4, v28, v5
	global_atomic_cmpswap v1, v[2:3], v[4:5], off sc0
	s_waitcnt vmcnt(0)
	v_cmp_eq_u32_e32 vcc, v5, v1
	s_or_b64 s[0:1], vcc, s[0:1]
	v_mov_b32_e32 v5, v1
	s_andn2_b64 exec, exec, s[0:1]
	s_cbranch_execnz .LBB31_19
; %bb.20:
	s_or_b64 exec, exec, s[0:1]
	global_load_dword v5, v[2:3], off offset:4
	s_mov_b64 s[0:1], 0
.LBB31_21:                              ; =>This Inner Loop Header: Depth=1
	s_waitcnt vmcnt(0)
	v_pk_add_f16 v4, v26, v5
	global_atomic_cmpswap v1, v[2:3], v[4:5], off offset:4 sc0
	s_waitcnt vmcnt(0)
	v_cmp_eq_u32_e32 vcc, v5, v1
	s_or_b64 s[0:1], vcc, s[0:1]
	v_mov_b32_e32 v5, v1
	s_andn2_b64 exec, exec, s[0:1]
	s_cbranch_execnz .LBB31_21
; %bb.22:
	s_or_b64 exec, exec, s[0:1]
	v_add_u32_e32 v0, s16, v0
	v_ashrrev_i32_e32 v1, 31, v0
	v_lshl_add_u64 v[2:3], v[0:1], 1, s[14:15]
	global_load_dword v5, v[2:3], off
	s_mov_b64 s[0:1], 0
.LBB31_23:                              ; =>This Inner Loop Header: Depth=1
	s_waitcnt vmcnt(0)
	v_pk_add_f16 v4, v25, v5
	global_atomic_cmpswap v1, v[2:3], v[4:5], off sc0
	s_waitcnt vmcnt(0)
	v_cmp_eq_u32_e32 vcc, v5, v1
	s_or_b64 s[0:1], vcc, s[0:1]
	v_mov_b32_e32 v5, v1
	s_andn2_b64 exec, exec, s[0:1]
	s_cbranch_execnz .LBB31_23
; %bb.24:
	s_or_b64 exec, exec, s[0:1]
	global_load_dword v5, v[2:3], off offset:4
	s_mov_b64 s[0:1], 0
.LBB31_25:                              ; =>This Inner Loop Header: Depth=1
	s_waitcnt vmcnt(0)
	v_pk_add_f16 v4, v24, v5
	global_atomic_cmpswap v1, v[2:3], v[4:5], off offset:4 sc0
	s_waitcnt vmcnt(0)
	v_cmp_eq_u32_e32 vcc, v5, v1
	s_or_b64 s[0:1], vcc, s[0:1]
	v_mov_b32_e32 v5, v1
	s_andn2_b64 exec, exec, s[0:1]
	s_cbranch_execnz .LBB31_25
; %bb.26:
	s_or_b64 exec, exec, s[0:1]
	;; [unrolled: 31-line block ×4, first 2 shown]
	v_add_u32_e32 v0, s16, v0
	v_ashrrev_i32_e32 v1, 31, v0
	v_lshl_add_u64 v[0:1], v[0:1], 1, s[14:15]
	global_load_dword v3, v[0:1], off
	s_mov_b64 s[0:1], 0
.LBB31_35:                              ; =>This Inner Loop Header: Depth=1
	s_waitcnt vmcnt(0)
	v_pk_add_f16 v2, v19, v3
	global_atomic_cmpswap v2, v[0:1], v[2:3], off sc0
	s_waitcnt vmcnt(0)
	v_cmp_eq_u32_e32 vcc, v3, v2
	s_or_b64 s[0:1], vcc, s[0:1]
	v_mov_b32_e32 v3, v2
	s_andn2_b64 exec, exec, s[0:1]
	s_cbranch_execnz .LBB31_35
; %bb.36:
	s_or_b64 exec, exec, s[0:1]
	global_load_dword v3, v[0:1], off offset:4
	s_mov_b64 s[0:1], 0
.LBB31_37:                              ; =>This Inner Loop Header: Depth=1
	s_waitcnt vmcnt(0)
	v_pk_add_f16 v2, v18, v3
	global_atomic_cmpswap v2, v[0:1], v[2:3], off offset:4 sc0
	s_waitcnt vmcnt(0)
	v_cmp_eq_u32_e32 vcc, v3, v2
	s_or_b64 s[0:1], vcc, s[0:1]
	v_mov_b32_e32 v3, v2
	s_andn2_b64 exec, exec, s[0:1]
	s_cbranch_execnz .LBB31_37
.LBB31_38:
	s_endpgm
	.section	.rodata,"a",@progbits
	.p2align	6, 0x0
	.amdhsa_kernel _ZN4vllm4gptq33gemm_half_q_half_gptq_2bit_kernelILb1ELi5EEEvPK6__halfPKjS6_S4_PS2_iiiibPKi
		.amdhsa_group_segment_fixed_size 1280
		.amdhsa_private_segment_fixed_size 0
		.amdhsa_kernarg_size 72
		.amdhsa_user_sgpr_count 2
		.amdhsa_user_sgpr_dispatch_ptr 0
		.amdhsa_user_sgpr_queue_ptr 0
		.amdhsa_user_sgpr_kernarg_segment_ptr 1
		.amdhsa_user_sgpr_dispatch_id 0
		.amdhsa_user_sgpr_kernarg_preload_length 0
		.amdhsa_user_sgpr_kernarg_preload_offset 0
		.amdhsa_user_sgpr_private_segment_size 0
		.amdhsa_uses_dynamic_stack 0
		.amdhsa_enable_private_segment 0
		.amdhsa_system_sgpr_workgroup_id_x 1
		.amdhsa_system_sgpr_workgroup_id_y 1
		.amdhsa_system_sgpr_workgroup_id_z 1
		.amdhsa_system_sgpr_workgroup_info 0
		.amdhsa_system_vgpr_workitem_id 0
		.amdhsa_next_free_vgpr 79
		.amdhsa_next_free_sgpr 26
		.amdhsa_accum_offset 80
		.amdhsa_reserve_vcc 1
		.amdhsa_float_round_mode_32 0
		.amdhsa_float_round_mode_16_64 0
		.amdhsa_float_denorm_mode_32 3
		.amdhsa_float_denorm_mode_16_64 3
		.amdhsa_dx10_clamp 1
		.amdhsa_ieee_mode 1
		.amdhsa_fp16_overflow 0
		.amdhsa_tg_split 0
		.amdhsa_exception_fp_ieee_invalid_op 0
		.amdhsa_exception_fp_denorm_src 0
		.amdhsa_exception_fp_ieee_div_zero 0
		.amdhsa_exception_fp_ieee_overflow 0
		.amdhsa_exception_fp_ieee_underflow 0
		.amdhsa_exception_fp_ieee_inexact 0
		.amdhsa_exception_int_div_zero 0
	.end_amdhsa_kernel
	.section	.text._ZN4vllm4gptq33gemm_half_q_half_gptq_2bit_kernelILb1ELi5EEEvPK6__halfPKjS6_S4_PS2_iiiibPKi,"axG",@progbits,_ZN4vllm4gptq33gemm_half_q_half_gptq_2bit_kernelILb1ELi5EEEvPK6__halfPKjS6_S4_PS2_iiiibPKi,comdat
.Lfunc_end31:
	.size	_ZN4vllm4gptq33gemm_half_q_half_gptq_2bit_kernelILb1ELi5EEEvPK6__halfPKjS6_S4_PS2_iiiibPKi, .Lfunc_end31-_ZN4vllm4gptq33gemm_half_q_half_gptq_2bit_kernelILb1ELi5EEEvPK6__halfPKjS6_S4_PS2_iiiibPKi
                                        ; -- End function
	.set _ZN4vllm4gptq33gemm_half_q_half_gptq_2bit_kernelILb1ELi5EEEvPK6__halfPKjS6_S4_PS2_iiiibPKi.num_vgpr, 79
	.set _ZN4vllm4gptq33gemm_half_q_half_gptq_2bit_kernelILb1ELi5EEEvPK6__halfPKjS6_S4_PS2_iiiibPKi.num_agpr, 0
	.set _ZN4vllm4gptq33gemm_half_q_half_gptq_2bit_kernelILb1ELi5EEEvPK6__halfPKjS6_S4_PS2_iiiibPKi.numbered_sgpr, 26
	.set _ZN4vllm4gptq33gemm_half_q_half_gptq_2bit_kernelILb1ELi5EEEvPK6__halfPKjS6_S4_PS2_iiiibPKi.num_named_barrier, 0
	.set _ZN4vllm4gptq33gemm_half_q_half_gptq_2bit_kernelILb1ELi5EEEvPK6__halfPKjS6_S4_PS2_iiiibPKi.private_seg_size, 0
	.set _ZN4vllm4gptq33gemm_half_q_half_gptq_2bit_kernelILb1ELi5EEEvPK6__halfPKjS6_S4_PS2_iiiibPKi.uses_vcc, 1
	.set _ZN4vllm4gptq33gemm_half_q_half_gptq_2bit_kernelILb1ELi5EEEvPK6__halfPKjS6_S4_PS2_iiiibPKi.uses_flat_scratch, 0
	.set _ZN4vllm4gptq33gemm_half_q_half_gptq_2bit_kernelILb1ELi5EEEvPK6__halfPKjS6_S4_PS2_iiiibPKi.has_dyn_sized_stack, 0
	.set _ZN4vllm4gptq33gemm_half_q_half_gptq_2bit_kernelILb1ELi5EEEvPK6__halfPKjS6_S4_PS2_iiiibPKi.has_recursion, 0
	.set _ZN4vllm4gptq33gemm_half_q_half_gptq_2bit_kernelILb1ELi5EEEvPK6__halfPKjS6_S4_PS2_iiiibPKi.has_indirect_call, 0
	.section	.AMDGPU.csdata,"",@progbits
; Kernel info:
; codeLenInByte = 4908
; TotalNumSgprs: 32
; NumVgprs: 79
; NumAgprs: 0
; TotalNumVgprs: 79
; ScratchSize: 0
; MemoryBound: 0
; FloatMode: 240
; IeeeMode: 1
; LDSByteSize: 1280 bytes/workgroup (compile time only)
; SGPRBlocks: 3
; VGPRBlocks: 9
; NumSGPRsForWavesPerEU: 32
; NumVGPRsForWavesPerEU: 79
; AccumOffset: 80
; Occupancy: 6
; WaveLimiterHint : 0
; COMPUTE_PGM_RSRC2:SCRATCH_EN: 0
; COMPUTE_PGM_RSRC2:USER_SGPR: 2
; COMPUTE_PGM_RSRC2:TRAP_HANDLER: 0
; COMPUTE_PGM_RSRC2:TGID_X_EN: 1
; COMPUTE_PGM_RSRC2:TGID_Y_EN: 1
; COMPUTE_PGM_RSRC2:TGID_Z_EN: 1
; COMPUTE_PGM_RSRC2:TIDIG_COMP_CNT: 0
; COMPUTE_PGM_RSRC3_GFX90A:ACCUM_OFFSET: 19
; COMPUTE_PGM_RSRC3_GFX90A:TG_SPLIT: 0
	.section	.text._ZN4vllm4gptq33gemm_half_q_half_gptq_3bit_kernelILb1ELi5EEEvPK6__halfPKjS6_S4_PS2_iiiibPKi,"axG",@progbits,_ZN4vllm4gptq33gemm_half_q_half_gptq_3bit_kernelILb1ELi5EEEvPK6__halfPKjS6_S4_PS2_iiiibPKi,comdat
	.protected	_ZN4vllm4gptq33gemm_half_q_half_gptq_3bit_kernelILb1ELi5EEEvPK6__halfPKjS6_S4_PS2_iiiibPKi ; -- Begin function _ZN4vllm4gptq33gemm_half_q_half_gptq_3bit_kernelILb1ELi5EEEvPK6__halfPKjS6_S4_PS2_iiiibPKi
	.globl	_ZN4vllm4gptq33gemm_half_q_half_gptq_3bit_kernelILb1ELi5EEEvPK6__halfPKjS6_S4_PS2_iiiibPKi
	.p2align	8
	.type	_ZN4vllm4gptq33gemm_half_q_half_gptq_3bit_kernelILb1ELi5EEEvPK6__halfPKjS6_S4_PS2_iiiibPKi,@function
_ZN4vllm4gptq33gemm_half_q_half_gptq_3bit_kernelILb1ELi5EEEvPK6__halfPKjS6_S4_PS2_iiiibPKi: ; @_ZN4vllm4gptq33gemm_half_q_half_gptq_3bit_kernelILb1ELi5EEEvPK6__halfPKjS6_S4_PS2_iiiibPKi
; %bb.0:
	s_load_dwordx8 s[8:15], s[0:1], 0x8
	s_load_dwordx4 s[16:19], s[0:1], 0x2c
	s_lshl_b32 s27, s4, 7
	s_mul_i32 s26, s3, 5
	s_add_i32 s3, s27, 0x80
	v_cvt_f64_u32_e32 v[2:3], s3
	s_waitcnt lgkmcnt(0)
	v_cvt_f64_i32_e32 v[4:5], s17
	v_min_f64 v[2:3], v[2:3], v[4:5]
	v_cvt_i32_f64_e32 v1, v[2:3]
	v_add_u32_e32 v2, s27, v0
	v_readfirstlane_b32 s28, v1
	v_cmp_lt_u32_e32 vcc, v2, v1
	s_and_saveexec_b64 s[4:5], vcc
	s_cbranch_execz .LBB32_12
; %bb.1:
	s_load_dwordx2 s[22:23], s[0:1], 0x40
	s_load_dwordx2 s[6:7], s[0:1], 0x0
	v_mov_b32_e32 v3, 0
	v_mov_b64_e32 v[6:7], v[2:3]
	s_waitcnt lgkmcnt(0)
	s_cmp_lg_u64 s[22:23], 0
	s_cselect_b64 s[20:21], -1, 0
	s_cmp_eq_u64 s[22:23], 0
	v_lshl_add_u64 v[4:5], v[2:3], 2, s[22:23]
	s_cbranch_scc1 .LBB32_3
; %bb.2:
	global_load_dword v6, v[4:5], off
	s_waitcnt vmcnt(0)
	v_ashrrev_i32_e32 v7, 31, v6
.LBB32_3:
	s_mul_i32 s22, s26, s17
	s_ashr_i32 s23, s22, 31
	s_lshl_b64 s[0:1], s[22:23], 1
	s_add_u32 s0, s6, s0
	s_addc_u32 s1, s7, s1
	v_lshl_add_u64 v[6:7], v[6:7], 1, s[0:1]
	global_load_ushort v6, v[6:7], off
	v_lshlrev_b32_e32 v1, 1, v0
	v_cndmask_b32_e64 v7, 0, 1, s[20:21]
	v_cmp_ne_u32_e64 s[0:1], 1, v7
	s_andn2_b64 vcc, exec, s[20:21]
	s_waitcnt vmcnt(0)
	ds_write_b16 v1, v6
	v_mov_b64_e32 v[6:7], v[2:3]
	s_cbranch_vccnz .LBB32_5
; %bb.4:
	global_load_dword v6, v[4:5], off
	s_waitcnt vmcnt(0)
	v_ashrrev_i32_e32 v7, 31, v6
.LBB32_5:
	s_add_i32 s20, s22, s17
	s_ashr_i32 s21, s20, 31
	s_lshl_b64 s[22:23], s[20:21], 1
	s_add_u32 s22, s6, s22
	s_addc_u32 s23, s7, s23
	v_lshl_add_u64 v[6:7], v[6:7], 1, s[22:23]
	global_load_ushort v6, v[6:7], off
	s_and_b64 vcc, exec, s[0:1]
	s_waitcnt vmcnt(0)
	ds_write_b16 v1, v6 offset:256
	v_mov_b64_e32 v[6:7], v[2:3]
	s_cbranch_vccnz .LBB32_7
; %bb.6:
	global_load_dword v6, v[4:5], off
	s_waitcnt vmcnt(0)
	v_ashrrev_i32_e32 v7, 31, v6
.LBB32_7:
	s_add_i32 s20, s20, s17
	s_ashr_i32 s21, s20, 31
	s_lshl_b64 s[22:23], s[20:21], 1
	s_add_u32 s22, s6, s22
	s_addc_u32 s23, s7, s23
	v_lshl_add_u64 v[6:7], v[6:7], 1, s[22:23]
	global_load_ushort v6, v[6:7], off
	s_and_b64 vcc, exec, s[0:1]
	s_waitcnt vmcnt(0)
	ds_write_b16 v1, v6 offset:512
	;; [unrolled: 17-line block ×3, first 2 shown]
	s_cbranch_vccnz .LBB32_11
; %bb.10:
	global_load_dword v2, v[4:5], off
	s_waitcnt vmcnt(0)
	v_ashrrev_i32_e32 v3, 31, v2
.LBB32_11:
	s_add_i32 s0, s20, s17
	s_ashr_i32 s1, s0, 31
	s_lshl_b64 s[0:1], s[0:1], 1
	s_add_u32 s0, s6, s0
	s_addc_u32 s1, s7, s1
	v_lshl_add_u64 v[2:3], v[2:3], 1, s[0:1]
	global_load_ushort v2, v[2:3], off
	s_waitcnt vmcnt(0)
	ds_write_b16 v1, v2 offset:1024
.LBB32_12:
	s_or_b64 exec, exec, s[4:5]
	v_lshlrev_b32_e32 v0, 2, v0
	v_lshl_add_u32 v12, s2, 9, v0
	v_cmp_gt_i32_e32 vcc, s16, v12
	s_and_saveexec_b64 s[0:1], vcc
	s_cbranch_execz .LBB32_70
; %bb.13:
	s_abs_i32 s0, s18
	v_cvt_f32_u32_e32 v1, s0
	s_sub_i32 s3, 0, s0
	s_abs_i32 s2, s17
	s_xor_b32 s1, s17, s18
	v_rcp_iflag_f32_e32 v1, v1
	s_ashr_i32 s1, s1, 31
	v_and_b32_e32 v2, 28, v0
	v_cmp_lt_u32_e32 vcc, 4, v2
	v_mul_f32_e32 v1, 0x4f7ffffe, v1
	v_cvt_u32_f32_e32 v1, v1
	s_waitcnt lgkmcnt(0)
	s_barrier
	v_readfirstlane_b32 s4, v1
	s_mul_i32 s3, s3, s4
	s_mul_hi_u32 s3, s4, s3
	s_add_i32 s4, s4, s3
	s_mul_hi_u32 s3, s2, s4
	s_mul_i32 s4, s3, s0
	s_sub_i32 s2, s2, s4
	s_add_i32 s5, s3, 1
	s_sub_i32 s4, s2, s0
	s_cmp_ge_u32 s2, s0
	s_cselect_b32 s3, s5, s3
	s_cselect_b32 s2, s4, s2
	s_add_i32 s4, s3, 1
	s_cmp_ge_u32 s2, s0
	s_cselect_b32 s0, s4, s3
	s_xor_b32 s0, s0, s1
	s_sub_i32 s29, s0, s1
	v_cvt_f32_u32_e32 v1, s29
	s_sub_i32 s0, 0, s29
                                        ; implicit-def: $vgpr3
                                        ; implicit-def: $vgpr0
	v_rcp_iflag_f32_e32 v1, v1
	s_nop 0
	v_mul_f32_e32 v1, 0x4f7ffffe, v1
	v_cvt_u32_f32_e32 v1, v1
	s_nop 0
	v_readfirstlane_b32 s1, v1
	s_mul_i32 s0, s0, s1
	s_mul_hi_u32 s0, s1, s0
	s_add_i32 s1, s1, s0
	s_mul_hi_u32 s0, s27, s1
	s_mul_i32 s1, s0, s29
	s_sub_i32 s1, s27, s1
	s_add_i32 s2, s0, 1
	s_sub_i32 s3, s1, s29
	s_cmp_ge_u32 s1, s29
	s_cselect_b32 s0, s2, s0
	s_cselect_b32 s1, s3, s1
	s_add_i32 s2, s0, 1
	s_cmp_ge_u32 s1, s29
	s_cselect_b32 s30, s2, s0
	s_and_saveexec_b64 s[0:1], vcc
	s_xor_b64 s[2:3], exec, s[0:1]
	s_cbranch_execz .LBB32_27
; %bb.14:
	v_cmp_ne_u32_e64 s[0:1], 8, v2
                                        ; implicit-def: $vgpr3
                                        ; implicit-def: $vgpr0
	s_and_saveexec_b64 s[4:5], s[0:1]
	s_xor_b64 s[4:5], exec, s[4:5]
	s_cbranch_execz .LBB32_24
; %bb.15:
	v_cmp_lt_u32_e64 s[0:1], 16, v2
                                        ; implicit-def: $vgpr3
                                        ; implicit-def: $vgpr0
	s_and_saveexec_b64 s[6:7], s[0:1]
	s_xor_b64 s[6:7], exec, s[6:7]
	s_cbranch_execz .LBB32_21
; %bb.16:
	s_mul_i32 s17, s30, s16
	v_lshl_add_u32 v0, v12, 1, v12
	s_ashr_i32 s0, s17, 31
	v_ashrrev_i32_e32 v1, 31, v0
	s_lshr_b32 s0, s0, 27
	v_lshrrev_b32_e32 v1, 27, v1
	s_add_i32 s0, s17, s0
	v_add_u32_e32 v0, v0, v1
	s_ashr_i32 s0, s0, 5
	v_ashrrev_i32_e32 v0, 5, v0
	v_mad_u64_u32 v[0:1], s[0:1], s0, 3, v[0:1]
	v_ashrrev_i32_e32 v1, 31, v0
	v_lshl_add_u64 v[0:1], v[0:1], 2, s[10:11]
	global_load_dword v4, v[0:1], off
	v_cmp_ne_u32_e64 s[0:1], 20, v2
                                        ; implicit-def: $vgpr3
	s_and_saveexec_b64 s[20:21], s[0:1]
	s_xor_b64 s[0:1], exec, s[20:21]
	s_cbranch_execz .LBB32_18
; %bb.17:
	v_not_b32_e32 v0, 63
	v_mad_u32_u24 v0, v2, 3, v0
	s_waitcnt vmcnt(0)
	v_lshrrev_b32_e32 v3, v0, v4
                                        ; implicit-def: $vgpr0_vgpr1
                                        ; implicit-def: $vgpr4
.LBB32_18:
	s_andn2_saveexec_b64 s[0:1], s[0:1]
	s_cbranch_execz .LBB32_20
; %bb.19:
	global_load_dword v0, v[0:1], off offset:4
	s_waitcnt vmcnt(0)
	v_alignbit_b32 v0, v0, v4, 28
	v_and_b32_e32 v3, 0xfff, v0
.LBB32_20:
	s_or_b64 exec, exec, s[0:1]
	v_mov_b32_e32 v0, s17
.LBB32_21:
	s_andn2_saveexec_b64 s[0:1], s[6:7]
	s_cbranch_execz .LBB32_23
; %bb.22:
	s_mul_i32 s17, s30, s16
	v_lshl_add_u32 v0, v12, 1, v12
	s_ashr_i32 s6, s17, 31
	v_ashrrev_i32_e32 v1, 31, v0
	s_lshr_b32 s6, s6, 27
	v_lshrrev_b32_e32 v1, 27, v1
	s_add_i32 s6, s17, s6
	v_add_u32_e32 v0, v0, v1
	s_ashr_i32 s6, s6, 5
	v_ashrrev_i32_e32 v0, 5, v0
	v_mad_u64_u32 v[0:1], s[6:7], s6, 3, v[0:1]
	v_ashrrev_i32_e32 v1, 31, v0
	v_lshl_add_u64 v[0:1], v[0:1], 2, s[10:11]
	global_load_dword v0, v[0:1], off
	v_not_b32_e32 v1, 31
	v_mad_u32_u24 v1, v2, 3, v1
	s_waitcnt vmcnt(0)
	v_lshrrev_b32_e32 v3, v1, v0
	v_mov_b32_e32 v0, s17
.LBB32_23:
	s_or_b64 exec, exec, s[0:1]
.LBB32_24:
	s_andn2_saveexec_b64 s[0:1], s[4:5]
	s_cbranch_execz .LBB32_26
; %bb.25:
	s_mul_i32 s6, s30, s16
	v_lshl_add_u32 v0, v12, 1, v12
	s_ashr_i32 s4, s6, 31
	v_ashrrev_i32_e32 v1, 31, v0
	s_lshr_b32 s4, s4, 27
	v_lshrrev_b32_e32 v1, 27, v1
	s_add_i32 s4, s6, s4
	v_add_u32_e32 v0, v0, v1
	s_ashr_i32 s4, s4, 5
	v_ashrrev_i32_e32 v0, 5, v0
	v_mad_u64_u32 v[0:1], s[4:5], s4, 3, v[0:1]
	v_ashrrev_i32_e32 v1, 31, v0
	v_lshl_add_u64 v[0:1], v[0:1], 2, s[10:11]
	global_load_dwordx2 v[0:1], v[0:1], off
	s_mov_b32 s4, 0x2010007
	s_waitcnt vmcnt(0)
	v_perm_b32 v0, v0, v1, s4
	v_and_b32_e32 v3, 0xfff, v0
	v_mov_b32_e32 v0, s6
.LBB32_26:
	s_or_b64 exec, exec, s[0:1]
.LBB32_27:
	s_or_saveexec_b64 s[0:1], s[2:3]
	v_lshl_add_u32 v1, v12, 1, v12
	s_waitcnt vmcnt(0)
	v_ashrrev_i32_e32 v4, 31, v1
	v_mul_u32_u24_e32 v29, 3, v2
	s_xor_b64 exec, exec, s[0:1]
	s_cbranch_execz .LBB32_29
; %bb.28:
	s_mul_i32 s4, s30, s16
	s_ashr_i32 s2, s4, 31
	s_lshr_b32 s2, s2, 27
	v_lshrrev_b32_e32 v0, 27, v4
	s_add_i32 s2, s4, s2
	v_add_u32_e32 v0, v1, v0
	s_ashr_i32 s2, s2, 5
	v_ashrrev_i32_e32 v0, 5, v0
	v_mad_u64_u32 v[6:7], s[2:3], s2, 3, v[0:1]
	v_ashrrev_i32_e32 v7, 31, v6
	v_lshl_add_u64 v[6:7], v[6:7], 2, s[10:11]
	global_load_dword v0, v[6:7], off
	s_waitcnt vmcnt(0)
	v_lshrrev_b32_e32 v3, v29, v0
	v_mov_b32_e32 v0, s4
.LBB32_29:
	s_or_b64 exec, exec, s[0:1]
	s_mov_b32 s31, 0
	v_mov_b32_e32 v32, 0
	s_cmp_ge_i32 s27, s28
	v_mov_b32_e32 v31, 0
	v_mov_b32_e32 v30, 0
	;; [unrolled: 1-line block ×9, first 2 shown]
	s_cbranch_scc1 .LBB32_50
; %bb.30:
	v_add_u32_e32 v6, v0, v12
	v_ashrrev_i32_e32 v7, 31, v6
	v_lshl_add_u64 v[6:7], v[6:7], 1, s[12:13]
	global_load_dwordx2 v[18:19], v[6:7], off
	s_lshr_b32 s0, s27, 5
	s_mul_i32 s0, s0, s16
	s_mul_i32 s6, s0, 3
	s_add_i32 s33, s29, s27
	s_ashr_i32 s7, s6, 31
	s_bitcmp1_b32 s19, 0
	s_cselect_b64 s[0:1], -1, 0
	v_lshrrev_b32_e32 v0, 27, v4
	s_xor_b64 s[0:1], s[0:1], -1
	v_add_u32_e32 v0, v1, v0
	s_ashr_i32 s17, s16, 31
	s_lshl_b64 s[6:7], s[6:7], 2
	v_ashrrev_i32_e32 v14, 5, v0
	v_not_b32_e32 v0, 63
	s_add_u32 s6, s8, s6
	v_ashrrev_i32_e32 v13, 31, v12
	v_mad_u32_u24 v34, v2, 3, v0
	v_not_b32_e32 v0, 31
	s_addc_u32 s7, s9, s7
	v_cndmask_b32_e64 v33, 0, 1, s[0:1]
	v_bfe_u32 v37, v3, 9, 3
	v_bfe_u32 v38, v3, 6, 3
	;; [unrolled: 1-line block ×3, first 2 shown]
	v_and_b32_e32 v40, 7, v3
	v_cmp_ne_u32_e64 s[0:1], 8, v2
	v_cmp_lt_u32_e64 s[2:3], 16, v2
	v_cmp_ne_u32_e64 s[4:5], 20, v2
	v_mad_u32_u24 v35, v2, 3, v0
	v_lshl_add_u64 v[16:17], v[12:13], 2, s[6:7]
	s_mul_hi_i32 s7, s16, 12
	s_mul_i32 s6, s16, 12
	s_lshl_b64 s[8:9], s[16:17], 2
	v_mov_b32_e32 v13, 0
	s_mov_b32 s17, 0x2010007
	s_mov_b32 s34, 0x10001
	;; [unrolled: 1-line block ×3, first 2 shown]
	s_movk_i32 s36, 0x3000
	s_movk_i32 s37, 0x2400
	s_mov_b32 s38, 0x7060302
	v_mov_b32_e32 v36, 0xe400e400
	v_mov_b32_e32 v15, 0
	;; [unrolled: 1-line block ×10, first 2 shown]
	s_branch .LBB32_33
.LBB32_31:                              ;   in Loop: Header=BB32_33 Depth=1
	s_or_b64 exec, exec, s[18:19]
	v_add_u32_e32 v0, s39, v12
	v_ashrrev_i32_e32 v1, 31, v0
	v_lshl_add_u64 v[0:1], v[0:1], 1, s[12:13]
	global_load_dwordx2 v[18:19], v[0:1], off
	s_add_i32 s33, s33, s29
	v_and_b32_e32 v40, 7, v2
	v_bfe_u32 v39, v2, 3, 3
	v_bfe_u32 v38, v2, 6, 3
	;; [unrolled: 1-line block ×3, first 2 shown]
.LBB32_32:                              ;   in Loop: Header=BB32_33 Depth=1
	v_lshl_add_u64 v[0:1], v[16:17], 0, s[8:9]
	global_load_dwordx4 v[8:11], v[16:17], off
	global_load_dwordx4 v[4:7], v[0:1], off
	v_lshl_add_u64 v[0:1], v[0:1], 0, s[8:9]
	global_load_dwordx4 v[0:3], v[0:1], off
	v_add_u32_e32 v20, v40, v33
	v_add_u32_e32 v21, v39, v33
	;; [unrolled: 1-line block ×3, first 2 shown]
	v_cvt_f32_u32_e32 v43, v20
	v_add_u32_e32 v42, v37, v33
	v_cvt_f32_u32_e32 v44, v21
	v_cvt_f32_u32_e32 v47, v41
	v_mad_u32_u24 v22, v21, s34, v36
	v_mad_u32_u24 v21, v41, s34, v36
	v_cvt_f32_u32_e32 v41, v42
	v_cvt_f16_f32_e32 v46, v43
	v_cvt_f16_f32_e32 v45, v44
	v_cvt_f16_f32_e32 v44, v47
	v_cvt_f16_f32_e32 v43, v41
	v_sub_f16_e32 v41, 0xd800, v46
	v_mad_u32_u24 v23, v20, s34, v36
	v_mad_u32_u24 v20, v42, s34, v36
	v_sub_f16_e32 v42, 0xd800, v45
	v_sub_f16_e32 v47, 0xd800, v44
	v_mul_u32_u24_e32 v61, 0x10001, v41
	v_sub_f16_e32 v48, 0xd800, v43
	v_mul_u32_u24_e32 v60, 0x10001, v42
	v_mul_u32_u24_e32 v56, 0x10001, v47
	;; [unrolled: 1-line block ×3, first 2 shown]
	s_add_i32 s18, s31, 0x400
	s_add_i32 s27, s27, 32
	v_lshl_add_u64 v[16:17], v[16:17], 0, s[6:7]
	s_waitcnt vmcnt(2)
	v_and_b32_e32 v41, 0x70007, v8
	v_and_b32_e32 v42, 0x380038, v8
	v_lshrrev_b32_e32 v47, 6, v8
	s_waitcnt vmcnt(0)
	v_and_b32_e32 v87, 0x70007, v2
	v_and_b32_e32 v89, 0x380038, v2
	v_lshrrev_b32_e32 v90, 6, v2
	v_lshrrev_b32_e32 v92, 13, v2
	v_mov_b32_e32 v2, s31
	v_and_b32_e32 v51, 0x70007, v0
	v_and_b32_e32 v52, 0x380038, v0
	v_lshrrev_b32_e32 v100, 6, v0
	v_lshrrev_b32_e32 v103, 13, v0
	v_and_b32_e32 v85, 0x70007, v1
	v_and_b32_e32 v86, 0x380038, v1
	v_lshrrev_b32_e32 v91, 6, v1
	v_lshrrev_b32_e32 v101, 13, v1
	ds_read2_b32 v[0:1], v2 offset1:1
	v_lshrrev_b32_e32 v59, 15, v8
	v_and_b32_e32 v8, 0x70007, v9
	v_and_b32_e32 v57, 0x70007, v11
	;; [unrolled: 1-line block ×3, first 2 shown]
	v_lshrrev_b32_e32 v69, 6, v11
	v_lshrrev_b32_e32 v66, 15, v11
	v_or_b32_e32 v11, 0x64006400, v41
	v_and_b32_e32 v49, 0x380038, v9
	v_lshrrev_b32_e32 v48, 6, v9
	v_lshrrev_b32_e32 v62, 15, v9
	v_and_b32_e32 v9, 0x70007, v10
	v_and_b32_e32 v50, 0x380038, v10
	v_lshrrev_b32_e32 v67, 6, v10
	v_lshrrev_b32_e32 v65, 15, v10
	v_or_b32_e32 v41, 0x64006400, v42
	v_and_b32_e32 v10, 0x70007, v4
	v_and_b32_e32 v70, 0x380038, v4
	v_lshrrev_b32_e32 v73, 6, v4
	v_lshrrev_b32_e32 v88, 14, v4
	v_or_b32_e32 v42, 0x64006400, v8
	v_and_b32_e32 v78, 0x70007, v6
	v_and_b32_e32 v79, 0x380038, v6
	v_lshrrev_b32_e32 v93, 6, v6
	v_lshrrev_b32_e32 v4, 14, v6
	v_and_b32_e32 v81, 0x70007, v7
	v_and_b32_e32 v80, 0x380038, v7
	v_pk_add_f16 v6, v23, v11
	v_lshrrev_b32_e32 v94, 6, v7
	v_lshrrev_b32_e32 v104, 14, v7
	v_or_b32_e32 v7, 0x64006400, v57
	v_or_b32_e32 v49, 0x64006400, v49
	;; [unrolled: 1-line block ×3, first 2 shown]
	v_pk_fma_f16 v8, v41, s36, v61 op_sel_hi:[1,0,1]
	v_pk_add_f16 v53, v22, v42
	v_pk_add_f16 v57, v20, v7
	s_waitcnt lgkmcnt(0)
	v_pk_fma_f16 v7, v6, v0, 0
	v_or_b32_e32 v50, 0x64006400, v50
	v_pk_fma_f16 v54, v49, s36, v60 op_sel_hi:[1,0,1]
	v_pk_add_f16 v49, v21, v9
	v_or_b32_e32 v9, 0x64006400, v58
	v_pk_fma_f16 v11, v8, v1, v7
	v_pk_fma_f16 v7, v53, v0, 0
	v_pk_fma_f16 v50, v50, s36, v56 op_sel_hi:[1,0,1]
	v_pk_fma_f16 v58, v9, s36, v55 op_sel_hi:[1,0,1]
	v_pk_fma_f16 v75, v54, v1, v7
	v_pk_fma_f16 v7, v49, v0, 0
	;; [unrolled: 1-line block ×5, first 2 shown]
	v_and_b32_e32 v1, 0x70007, v47
	v_or_b32_e32 v1, 0x64006400, v1
	v_and_b32_e32 v7, 0x380038, v47
	v_or_b32_e32 v9, 0x64006400, v7
	v_pk_add_f16 v7, v23, v1
	v_and_b32_e32 v1, 0x70007, v48
	v_or_b32_e32 v1, 0x64006400, v1
	v_and_b32_e32 v41, 0x380038, v48
	v_or_b32_e32 v41, 0x64006400, v41
	v_pk_add_f16 v71, v22, v1
	v_and_b32_e32 v1, 0x70007, v67
	ds_read2_b32 v[82:83], v2 offset0:2 offset1:3
	ds_read2_b32 v[98:99], v2 offset0:4 offset1:5
	;; [unrolled: 1-line block ×3, first 2 shown]
	v_pk_fma_f16 v72, v41, s36, v60 op_sel_hi:[1,0,1]
	v_or_b32_e32 v1, 0x64006400, v1
	v_and_b32_e32 v41, 0x380038, v67
	v_or_b32_e32 v41, 0x64006400, v41
	v_pk_add_f16 v63, v21, v1
	v_and_b32_e32 v1, 0x70007, v69
	v_pk_fma_f16 v64, v41, s36, v56 op_sel_hi:[1,0,1]
	v_or_b32_e32 v1, 0x64006400, v1
	v_and_b32_e32 v41, 0x380038, v69
	v_pk_fma_f16 v9, v9, s36, v61 op_sel_hi:[1,0,1]
	v_or_b32_e32 v42, 0x64006400, v41
	v_pk_add_f16 v41, v20, v1
	s_waitcnt lgkmcnt(2)
	v_pk_fma_f16 v1, v7, v82, v11
	v_pk_fma_f16 v42, v42, s36, v55 op_sel_hi:[1,0,1]
	v_pk_fma_f16 v84, v9, v83, v1
	v_pk_fma_f16 v1, v71, v82, v75
	;; [unrolled: 1-line block ×6, first 2 shown]
	v_sub_f16_e32 v0, 0xcc00, v46
	v_mul_u32_u24_e32 v105, 0x10001, v0
	v_sub_f16_e32 v0, 0xcc00, v45
	v_mul_u32_u24_e32 v108, 0x10001, v0
	v_sub_f16_e32 v0, 0xcc00, v44
	v_and_b32_e32 v11, 0x1c001c0, v47
	v_pk_fma_f16 v102, v64, v83, v1
	v_mul_u32_u24_e32 v1, 0x10001, v0
	v_sub_f16_e32 v0, 0xcc00, v43
	v_or_b32_e32 v11, 0x64006400, v11
	v_or_b32_e32 v43, 0x64006400, v10
	v_pk_fma_f16 v10, v11, s37, v105 op_sel_hi:[1,0,1]
	v_pk_add_f16 v11, v23, v43
	v_and_b32_e32 v43, 0x1c001c0, v48
	v_or_b32_e32 v43, 0x64006400, v43
	v_pk_fma_f16 v75, v43, s37, v108 op_sel_hi:[1,0,1]
	v_and_b32_e32 v43, 0x1c001c0, v67
	v_and_b32_e32 v68, 0x70007, v5
	v_or_b32_e32 v43, 0x64006400, v43
	v_or_b32_e32 v44, 0x64006400, v68
	v_pk_fma_f16 v67, v43, s37, v1 op_sel_hi:[1,0,1]
	v_and_b32_e32 v43, 0x1c001c0, v69
	s_waitcnt lgkmcnt(1)
	v_pk_fma_f16 v45, v10, v98, v84
	v_mul_u32_u24_e32 v0, 0x10001, v0
	v_pk_add_f16 v76, v22, v44
	v_or_b32_e32 v44, 0x64006400, v78
	v_or_b32_e32 v43, 0x64006400, v43
	v_pk_fma_f16 v47, v11, v99, v45
	v_pk_fma_f16 v45, v75, v98, v97
	v_and_b32_e32 v46, 0x70007, v73
	v_lshrrev_b32_e32 v74, 6, v5
	v_pk_add_f16 v68, v21, v44
	v_or_b32_e32 v44, 0x64006400, v81
	v_pk_fma_f16 v43, v43, s37, v0 op_sel_hi:[1,0,1]
	v_pk_fma_f16 v48, v76, v99, v45
	v_pk_fma_f16 v45, v67, v98, v102
	v_or_b32_e32 v46, 0x64006400, v46
	v_pk_add_f16 v44, v20, v44
	v_pk_fma_f16 v83, v68, v99, v45
	v_pk_fma_f16 v45, v43, v98, v82
	v_pk_add_f16 v81, v23, v46
	v_and_b32_e32 v46, 0x70007, v74
	v_and_b32_e32 v77, 0x380038, v5
	v_pk_fma_f16 v84, v44, v99, v45
	v_or_b32_e32 v45, 0x64006400, v70
	v_or_b32_e32 v46, 0x64006400, v46
	v_pk_fma_f16 v82, v45, s36, v61 op_sel_hi:[1,0,1]
	v_or_b32_e32 v45, 0x64006400, v77
	v_pk_add_f16 v78, v22, v46
	v_and_b32_e32 v46, 0x70007, v93
	v_pk_fma_f16 v77, v45, s36, v60 op_sel_hi:[1,0,1]
	v_or_b32_e32 v45, 0x64006400, v79
	v_or_b32_e32 v46, 0x64006400, v46
	s_waitcnt lgkmcnt(0)
	v_pk_fma_f16 v47, v82, v110, v47
	v_pk_fma_f16 v69, v45, s36, v56 op_sel_hi:[1,0,1]
	v_pk_add_f16 v70, v21, v46
	v_or_b32_e32 v45, 0x64006400, v80
	v_and_b32_e32 v46, 0x70007, v94
	v_pk_fma_f16 v97, v81, v111, v47
	v_pk_fma_f16 v47, v77, v110, v48
	v_or_b32_e32 v46, 0x64006400, v46
	v_pk_fma_f16 v45, v45, s36, v55 op_sel_hi:[1,0,1]
	v_pk_fma_f16 v102, v78, v111, v47
	v_pk_fma_f16 v47, v69, v110, v83
	v_pk_add_f16 v46, v20, v46
	v_pk_fma_f16 v106, v70, v111, v47
	v_pk_fma_f16 v47, v45, v110, v84
	v_and_b32_e32 v48, 0x1c001c0, v73
	v_pk_fma_f16 v109, v46, v111, v47
	v_and_b32_e32 v47, 0x380038, v73
	v_or_b32_e32 v47, 0x64006400, v47
	ds_read2_b32 v[98:99], v2 offset0:8 offset1:9
	v_or_b32_e32 v48, 0x64006400, v48
	v_pk_fma_f16 v83, v47, s36, v61 op_sel_hi:[1,0,1]
	v_and_b32_e32 v47, 0x380038, v74
	v_pk_fma_f16 v84, v48, s37, v105 op_sel_hi:[1,0,1]
	v_or_b32_e32 v47, 0x64006400, v47
	v_and_b32_e32 v48, 0x1c001c0, v74
	v_or_b32_e32 v48, 0x64006400, v48
	v_pk_fma_f16 v79, v47, s36, v60 op_sel_hi:[1,0,1]
	v_and_b32_e32 v47, 0x380038, v93
	v_pk_fma_f16 v80, v48, s37, v108 op_sel_hi:[1,0,1]
	v_or_b32_e32 v47, 0x64006400, v47
	v_and_b32_e32 v48, 0x1c001c0, v93
	v_or_b32_e32 v48, 0x64006400, v48
	v_pk_fma_f16 v73, v47, s36, v56 op_sel_hi:[1,0,1]
	v_and_b32_e32 v47, 0x380038, v94
	s_waitcnt lgkmcnt(0)
	v_pk_fma_f16 v93, v83, v98, v97
	v_pk_fma_f16 v74, v48, s37, v1 op_sel_hi:[1,0,1]
	v_or_b32_e32 v47, 0x64006400, v47
	v_and_b32_e32 v48, 0x1c001c0, v94
	ds_read2_b32 v[110:111], v2 offset0:10 offset1:11
	ds_read2_b32 v[112:113], v2 offset0:12 offset1:13
	ds_read2_b32 v[114:115], v2 offset0:14 offset1:15
	v_pk_fma_f16 v116, v84, v99, v93
	v_pk_fma_f16 v93, v79, v98, v102
	v_or_b32_e32 v48, 0x64006400, v48
	v_pk_fma_f16 v47, v47, s36, v55 op_sel_hi:[1,0,1]
	v_pk_fma_f16 v102, v80, v99, v93
	v_pk_fma_f16 v93, v73, v98, v106
	v_or_b32_e32 v51, 0x64006400, v51
	v_pk_fma_f16 v48, v48, s37, v0 op_sel_hi:[1,0,1]
	v_pk_fma_f16 v106, v74, v99, v93
	v_pk_fma_f16 v93, v47, v98, v109
	v_or_b32_e32 v52, 0x64006400, v52
	v_pk_add_f16 v97, v23, v51
	v_or_b32_e32 v51, 0x64006400, v85
	v_and_b32_e32 v95, 0x70007, v3
	v_pk_fma_f16 v99, v48, v99, v93
	v_pk_fma_f16 v98, v52, s36, v61 op_sel_hi:[1,0,1]
	v_or_b32_e32 v52, 0x64006400, v86
	v_pk_add_f16 v93, v22, v51
	v_or_b32_e32 v51, 0x64006400, v87
	s_waitcnt lgkmcnt(2)
	v_pk_fma_f16 v87, v97, v110, v116
	v_and_b32_e32 v96, 0x380038, v3
	v_pk_fma_f16 v94, v52, s36, v60 op_sel_hi:[1,0,1]
	v_or_b32_e32 v52, 0x64006400, v89
	v_pk_add_f16 v85, v21, v51
	v_or_b32_e32 v51, 0x64006400, v95
	v_pk_fma_f16 v109, v98, v111, v87
	v_pk_fma_f16 v87, v93, v110, v102
	v_pk_fma_f16 v86, v52, s36, v56 op_sel_hi:[1,0,1]
	v_or_b32_e32 v52, 0x64006400, v96
	v_pk_add_f16 v51, v20, v51
	v_pk_fma_f16 v116, v94, v111, v87
	v_pk_fma_f16 v87, v85, v110, v106
	v_pk_fma_f16 v52, v52, s36, v55 op_sel_hi:[1,0,1]
	v_pk_fma_f16 v106, v86, v111, v87
	v_pk_fma_f16 v87, v51, v110, v99
	v_lshrrev_b32_e32 v107, 6, v3
	v_pk_fma_f16 v110, v52, v111, v87
	v_and_b32_e32 v87, 0x380038, v100
	v_or_b32_e32 v87, 0x64006400, v87
	v_pk_fma_f16 v99, v87, s36, v61 op_sel_hi:[1,0,1]
	v_and_b32_e32 v61, 0x380038, v91
	v_or_b32_e32 v61, 0x64006400, v61
	v_pk_fma_f16 v95, v61, s36, v60 op_sel_hi:[1,0,1]
	;; [unrolled: 3-line block ×4, first 2 shown]
	v_and_b32_e32 v56, 0x70007, v100
	v_or_b32_e32 v56, 0x64006400, v56
	v_pk_add_f16 v102, v23, v56
	v_and_b32_e32 v56, 0x70007, v91
	v_or_b32_e32 v56, 0x64006400, v56
	v_pk_add_f16 v96, v22, v56
	;; [unrolled: 3-line block ×3, first 2 shown]
	v_and_b32_e32 v56, 0x70007, v107
	s_waitcnt lgkmcnt(1)
	v_pk_fma_f16 v60, v102, v112, v109
	v_or_b32_e32 v56, 0x64006400, v56
	v_pk_fma_f16 v61, v99, v113, v60
	v_pk_fma_f16 v60, v96, v112, v116
	v_pk_add_f16 v56, v20, v56
	v_pk_fma_f16 v109, v95, v113, v60
	v_pk_fma_f16 v60, v89, v112, v106
	v_lshrrev_b32_e32 v5, 14, v5
	v_pk_fma_f16 v111, v87, v113, v60
	v_pk_fma_f16 v60, v56, v112, v110
	v_and_b32_e32 v5, 0x20002, v5
	v_pk_fma_f16 v110, v55, v113, v60
	v_and_b32_e32 v60, 0x20002, v88
	v_and_or_b32 v59, v59, s34, v60
	v_and_b32_e32 v60, 0x40004, v103
	v_or3_b32 v59, v59, v60, s35
	v_pk_add_f16 v106, v23, v59
	v_and_or_b32 v5, v62, s34, v5
	v_and_b32_e32 v23, 0x40004, v101
	v_or3_b32 v5, v5, v23, s35
	v_and_b32_e32 v4, 0x20002, v4
	v_pk_add_f16 v101, v22, v5
	v_and_or_b32 v4, v65, s34, v4
	v_and_b32_e32 v5, 0x40004, v92
	v_or3_b32 v4, v4, v5, s35
	v_and_b32_e32 v5, 0x1c001c0, v90
	v_or_b32_e32 v5, 0x64006400, v5
	v_lshrrev_b32_e32 v3, 13, v3
	v_and_b32_e32 v23, 0x1c001c0, v91
	v_pk_fma_f16 v91, v5, s37, v1 op_sel_hi:[1,0,1]
	v_and_b32_e32 v1, 0x20002, v104
	v_and_b32_e32 v60, 0x1c001c0, v100
	v_and_or_b32 v1, v66, s34, v1
	v_and_b32_e32 v3, 0x40004, v3
	v_or_b32_e32 v60, 0x64006400, v60
	v_or3_b32 v1, v1, v3, s35
	v_and_b32_e32 v3, 0x1c001c0, v107
	v_pk_fma_f16 v105, v60, s37, v105 op_sel_hi:[1,0,1]
	v_or_b32_e32 v23, 0x64006400, v23
	v_or_b32_e32 v3, 0x64006400, v3
	v_pk_fma_f16 v100, v23, s37, v108 op_sel_hi:[1,0,1]
	v_pk_fma_f16 v59, v3, s37, v0 op_sel_hi:[1,0,1]
	s_waitcnt lgkmcnt(0)
	v_pk_fma_f16 v0, v105, v114, v61
	v_pk_add_f16 v92, v21, v4
	v_pk_fma_f16 v103, v106, v115, v0
	v_pk_fma_f16 v0, v100, v114, v109
	v_pk_add_f16 v60, v20, v1
	v_pk_fma_f16 v104, v101, v115, v0
	v_pk_fma_f16 v0, v91, v114, v111
	;; [unrolled: 1-line block ×4, first 2 shown]
	ds_read2_b32 v[0:1], v2 offset0:64 offset1:65
	ds_read2_b32 v[4:5], v2 offset0:66 offset1:67
	;; [unrolled: 1-line block ×4, first 2 shown]
	v_pk_fma_f16 v62, v60, v115, v3
	s_waitcnt lgkmcnt(3)
	v_pk_fma_f16 v3, v6, v0, 0
	s_nop 0
	v_pk_fma_f16 v3, v8, v1, v3
	v_pk_fma_f16 v65, v53, v0, 0
	v_pk_fma_f16 v66, v49, v0, 0
	v_pk_fma_f16 v0, v57, v0, 0
	v_pk_fma_f16 v65, v54, v1, v65
	v_pk_fma_f16 v66, v50, v1, v66
	v_pk_fma_f16 v0, v58, v1, v0
	s_waitcnt lgkmcnt(2)
	v_pk_fma_f16 v1, v7, v4, v3
	v_pk_fma_f16 v3, v71, v4, v65
	v_pk_fma_f16 v1, v9, v5, v1
	v_pk_fma_f16 v3, v72, v5, v3
	v_pk_fma_f16 v65, v63, v4, v66
	s_waitcnt lgkmcnt(1)
	v_pk_fma_f16 v1, v10, v20, v1
	v_pk_fma_f16 v65, v64, v5, v65
	v_pk_fma_f16 v0, v41, v4, v0
	v_pk_fma_f16 v1, v11, v21, v1
	v_pk_fma_f16 v3, v75, v20, v3
	v_pk_fma_f16 v0, v42, v5, v0
	v_pk_fma_f16 v3, v76, v21, v3
	v_pk_fma_f16 v4, v67, v20, v65
	s_waitcnt lgkmcnt(0)
	v_pk_fma_f16 v1, v82, v22, v1
	v_pk_fma_f16 v4, v68, v21, v4
	v_pk_fma_f16 v0, v43, v20, v0
	v_pk_fma_f16 v65, v81, v23, v1
	v_pk_fma_f16 v1, v77, v22, v3
	v_pk_fma_f16 v0, v44, v21, v0
	v_pk_fma_f16 v3, v78, v23, v1
	v_pk_fma_f16 v1, v69, v22, v4
	v_pk_fma_f16 v4, v45, v22, v0
	v_pk_fma_f16 v66, v70, v23, v1
	ds_read2_b32 v[0:1], v2 offset0:72 offset1:73
	v_pk_fma_f16 v88, v46, v23, v4
	ds_read2_b32 v[4:5], v2 offset0:74 offset1:75
	ds_read2_b32 v[20:21], v2 offset0:76 offset1:77
	ds_read2_b32 v[22:23], v2 offset0:78 offset1:79
	s_waitcnt lgkmcnt(3)
	v_pk_fma_f16 v65, v83, v0, v65
	s_nop 0
	v_pk_fma_f16 v65, v84, v1, v65
	v_pk_fma_f16 v3, v79, v0, v3
	v_pk_fma_f16 v66, v73, v0, v66
	v_pk_fma_f16 v0, v47, v0, v88
	v_pk_fma_f16 v3, v80, v1, v3
	v_pk_fma_f16 v66, v74, v1, v66
	v_pk_fma_f16 v0, v48, v1, v0
	s_waitcnt lgkmcnt(2)
	v_pk_fma_f16 v1, v97, v4, v65
	v_pk_fma_f16 v3, v93, v4, v3
	v_pk_fma_f16 v1, v98, v5, v1
	v_pk_fma_f16 v3, v94, v5, v3
	v_pk_fma_f16 v65, v85, v4, v66
	s_waitcnt lgkmcnt(1)
	v_pk_fma_f16 v1, v102, v20, v1
	v_pk_fma_f16 v65, v86, v5, v65
	v_pk_fma_f16 v0, v51, v4, v0
	v_pk_fma_f16 v1, v99, v21, v1
	v_pk_fma_f16 v3, v96, v20, v3
	v_pk_fma_f16 v0, v52, v5, v0
	v_pk_fma_f16 v3, v95, v21, v3
	v_pk_fma_f16 v4, v89, v20, v65
	s_waitcnt lgkmcnt(0)
	v_pk_fma_f16 v1, v105, v22, v1
	v_pk_fma_f16 v4, v87, v21, v4
	v_pk_fma_f16 v0, v56, v20, v0
	v_pk_fma_f16 v109, v106, v23, v1
	v_pk_fma_f16 v1, v100, v22, v3
	v_pk_fma_f16 v0, v55, v21, v0
	v_pk_fma_f16 v110, v101, v23, v1
	v_pk_fma_f16 v1, v91, v22, v4
	v_pk_fma_f16 v3, v59, v22, v0
	v_pk_fma_f16 v65, v92, v23, v1
	ds_read2_b32 v[0:1], v2 offset0:128 offset1:129
	v_pk_fma_f16 v66, v60, v23, v3
	ds_read2_b32 v[4:5], v2 offset0:130 offset1:131
	ds_read2_b32 v[20:21], v2 offset0:132 offset1:133
	ds_read2_b32 v[22:23], v2 offset0:134 offset1:135
	;; [unrolled: 41-line block ×5, first 2 shown]
	s_waitcnt lgkmcnt(3)
	v_pk_fma_f16 v23, v83, v0, v107
	v_pk_fma_f16 v107, v79, v0, v108
	;; [unrolled: 1-line block ×7, first 2 shown]
	s_waitcnt lgkmcnt(2)
	v_pk_fma_f16 v0, v51, v4, v0
	v_pk_fma_f16 v108, v74, v1, v108
	;; [unrolled: 1-line block ×6, first 2 shown]
	s_waitcnt lgkmcnt(1)
	v_pk_fma_f16 v0, v56, v20, v0
	v_pk_fma_f16 v22, v94, v5, v22
	;; [unrolled: 1-line block ×8, first 2 shown]
	s_waitcnt lgkmcnt(0)
	v_pk_fma_f16 v0, v59, v2, v0
	v_pk_fma_f16 v4, v95, v21, v4
	;; [unrolled: 1-line block ×5, first 2 shown]
	v_mov_b32_e32 v0, s18
	v_pk_fma_f16 v5, v87, v21, v5
	v_pk_fma_f16 v113, v106, v3, v1
	;; [unrolled: 1-line block ×3, first 2 shown]
	ds_read2_b32 v[22:23], v0 offset1:1
	s_add_i32 s18, s31, 0x408
	v_pk_fma_f16 v114, v101, v3, v1
	v_pk_fma_f16 v1, v91, v2, v5
	v_mov_b32_e32 v0, s18
	s_add_i32 s18, s31, 0x410
	v_pk_fma_f16 v107, v92, v3, v1
	v_mov_b32_e32 v1, s18
	s_add_i32 s18, s31, 0x418
	v_mov_b32_e32 v4, s18
	ds_read2_b32 v[2:3], v0 offset1:1
	ds_read2_b32 v[0:1], v1 offset1:1
	;; [unrolled: 1-line block ×3, first 2 shown]
	s_waitcnt lgkmcnt(3)
	v_pk_fma_f16 v6, v6, v22, 0
	v_pk_fma_f16 v53, v53, v22, 0
	;; [unrolled: 1-line block ×4, first 2 shown]
	s_waitcnt lgkmcnt(2)
	v_pk_fma_f16 v6, v7, v2, v6
	v_pk_fma_f16 v22, v57, v22, 0
	;; [unrolled: 1-line block ×3, first 2 shown]
	s_add_i32 s18, s31, 0x420
	s_waitcnt lgkmcnt(1)
	v_pk_fma_f16 v6, v10, v0, v6
	v_pk_fma_f16 v53, v54, v23, v53
	;; [unrolled: 1-line block ×4, first 2 shown]
	s_waitcnt lgkmcnt(0)
	v_pk_fma_f16 v6, v82, v4, v6
	v_pk_fma_f16 v22, v58, v23, v22
	;; [unrolled: 1-line block ×3, first 2 shown]
	v_mov_b32_e32 v6, s18
	v_pk_fma_f16 v53, v71, v2, v53
	v_pk_fma_f16 v49, v63, v2, v49
	;; [unrolled: 1-line block ×3, first 2 shown]
	ds_read2_b32 v[6:7], v6 offset1:1
	v_pk_fma_f16 v53, v72, v3, v53
	v_pk_fma_f16 v49, v64, v3, v49
	;; [unrolled: 1-line block ×3, first 2 shown]
	s_add_i32 s18, s31, 0x428
	v_pk_fma_f16 v53, v75, v0, v53
	v_pk_fma_f16 v49, v67, v0, v49
	v_pk_fma_f16 v0, v43, v0, v2
	v_mov_b32_e32 v8, s18
	s_add_i32 s18, s31, 0x430
	v_pk_fma_f16 v53, v76, v1, v53
	v_pk_fma_f16 v49, v68, v1, v49
	v_pk_fma_f16 v0, v44, v1, v0
	v_mov_b32_e32 v9, s18
	;; [unrolled: 5-line block ×3, first 2 shown]
	ds_read2_b32 v[20:21], v8 offset1:1
	ds_read2_b32 v[10:11], v9 offset1:1
	ds_read2_b32 v[8:9], v82 offset1:1
	v_pk_fma_f16 v53, v78, v5, v53
	v_pk_fma_f16 v49, v70, v5, v49
	;; [unrolled: 1-line block ×3, first 2 shown]
	s_waitcnt lgkmcnt(3)
	v_pk_fma_f16 v81, v83, v6, v81
	v_pk_fma_f16 v53, v79, v6, v53
	v_pack_b32_f16 v54, v103, v104
	v_perm_b32 v71, v104, v103, s38
	v_pk_fma_f16 v49, v73, v6, v49
	v_pk_fma_f16 v0, v47, v6, v0
	v_pack_b32_f16 v1, v61, v62
	v_perm_b32 v2, v62, v61, s38
	v_pk_fma_f16 v81, v84, v7, v81
	v_pk_fma_f16 v53, v80, v7, v53
	v_pk_add_f16 v54, v54, v71
	v_pk_fma_f16 v49, v74, v7, v49
	v_pk_fma_f16 v0, v48, v7, v0
	v_pk_add_f16 v1, v1, v2
	s_waitcnt lgkmcnt(2)
	v_pk_fma_f16 v81, v97, v20, v81
	v_pk_fma_f16 v53, v93, v20, v53
	v_pk_fma_f16 v32, v54, v18, v32
	v_pack_b32_f16 v54, v109, v110
	v_perm_b32 v71, v110, v109, s38
	v_pk_fma_f16 v49, v85, v20, v49
	v_pk_fma_f16 v0, v51, v20, v0
	v_pk_fma_f16 v31, v1, v19, v31
	v_pack_b32_f16 v1, v65, v66
	v_perm_b32 v2, v66, v65, s38
	v_pk_fma_f16 v81, v98, v21, v81
	v_pk_fma_f16 v53, v94, v21, v53
	v_pk_add_f16 v54, v54, v71
	v_pk_fma_f16 v49, v86, v21, v49
	v_pk_fma_f16 v0, v52, v21, v0
	v_pk_add_f16 v1, v1, v2
	s_waitcnt lgkmcnt(1)
	v_pk_fma_f16 v81, v102, v10, v81
	v_pk_fma_f16 v53, v96, v10, v53
	v_pk_fma_f16 v30, v54, v18, v30
	v_pack_b32_f16 v54, v111, v112
	v_perm_b32 v71, v112, v111, s38
	v_pk_fma_f16 v49, v89, v10, v49
	;; [unrolled: 17-line block ×3, first 2 shown]
	v_pk_fma_f16 v0, v59, v8, v0
	v_pk_fma_f16 v26, v1, v19, v26
	v_pack_b32_f16 v1, v107, v108
	v_perm_b32 v2, v108, v107, s38
	v_pk_fma_f16 v81, v106, v9, v81
	v_pk_fma_f16 v53, v101, v9, v53
	v_pk_add_f16 v54, v54, v71
	v_pk_fma_f16 v49, v92, v9, v49
	v_pk_fma_f16 v0, v60, v9, v0
	v_pk_add_f16 v1, v1, v2
	v_pk_fma_f16 v25, v54, v18, v25
	v_pack_b32_f16 v54, v81, v53
	v_perm_b32 v53, v53, v81, s38
	v_pk_fma_f16 v24, v1, v19, v24
	v_pack_b32_f16 v1, v49, v0
	v_perm_b32 v0, v0, v49, s38
	v_pk_add_f16 v53, v54, v53
	v_pk_add_f16 v0, v1, v0
	s_add_i32 s31, s31, 64
	v_pk_fma_f16 v15, v53, v18, v15
	v_pk_fma_f16 v13, v0, v19, v13
	s_cmp_ge_i32 s27, s28
	s_cbranch_scc1 .LBB32_50
.LBB32_33:                              ; =>This Inner Loop Header: Depth=1
	s_cmp_lg_u32 s27, s33
	s_cbranch_scc1 .LBB32_32
; %bb.34:                               ;   in Loop: Header=BB32_33 Depth=1
	s_add_i32 s30, s30, 1
	s_mul_i32 s39, s30, s16
	s_ashr_i32 s18, s39, 31
	s_lshr_b32 s18, s18, 27
	s_add_i32 s18, s39, s18
	s_ashr_i32 s18, s18, 5
	v_mad_u64_u32 v[0:1], s[18:19], s18, 3, v[14:15]
	v_ashrrev_i32_e32 v1, 31, v0
	v_lshl_add_u64 v[0:1], v[0:1], 2, s[10:11]
	global_load_dword v3, v[0:1], off
                                        ; implicit-def: $vgpr2
	s_and_saveexec_b64 s[18:19], vcc
	s_xor_b64 s[18:19], exec, s[18:19]
	s_cbranch_execz .LBB32_48
; %bb.35:                               ;   in Loop: Header=BB32_33 Depth=1
                                        ; implicit-def: $vgpr2
	s_and_saveexec_b64 s[20:21], s[0:1]
	s_xor_b64 s[20:21], exec, s[20:21]
	s_cbranch_execz .LBB32_45
; %bb.36:                               ;   in Loop: Header=BB32_33 Depth=1
                                        ; implicit-def: $vgpr2
	s_and_saveexec_b64 s[22:23], s[2:3]
	;; [unrolled: 5-line block ×3, first 2 shown]
	s_xor_b64 s[24:25], exec, s[24:25]
	s_cbranch_execz .LBB32_39
; %bb.38:                               ;   in Loop: Header=BB32_33 Depth=1
	s_waitcnt vmcnt(0)
	v_lshrrev_b32_e32 v2, v34, v3
                                        ; implicit-def: $vgpr0_vgpr1
                                        ; implicit-def: $vgpr3
.LBB32_39:                              ;   in Loop: Header=BB32_33 Depth=1
	s_andn2_saveexec_b64 s[24:25], s[24:25]
	s_cbranch_execz .LBB32_41
; %bb.40:                               ;   in Loop: Header=BB32_33 Depth=1
	global_load_dword v0, v[0:1], off offset:4
	s_waitcnt vmcnt(0)
	v_alignbit_b32 v0, v0, v3, 28
	v_and_b32_e32 v2, 0xfff, v0
.LBB32_41:                              ;   in Loop: Header=BB32_33 Depth=1
	s_or_b64 exec, exec, s[24:25]
                                        ; implicit-def: $vgpr3
.LBB32_42:                              ;   in Loop: Header=BB32_33 Depth=1
	s_andn2_saveexec_b64 s[22:23], s[22:23]
	s_cbranch_execz .LBB32_44
; %bb.43:                               ;   in Loop: Header=BB32_33 Depth=1
	s_waitcnt vmcnt(0)
	v_lshrrev_b32_e32 v2, v35, v3
.LBB32_44:                              ;   in Loop: Header=BB32_33 Depth=1
	s_or_b64 exec, exec, s[22:23]
                                        ; implicit-def: $vgpr0_vgpr1
                                        ; implicit-def: $vgpr3
.LBB32_45:                              ;   in Loop: Header=BB32_33 Depth=1
	s_andn2_saveexec_b64 s[20:21], s[20:21]
	s_cbranch_execz .LBB32_47
; %bb.46:                               ;   in Loop: Header=BB32_33 Depth=1
	global_load_dword v0, v[0:1], off offset:4
	s_waitcnt vmcnt(0)
	v_perm_b32 v0, v3, v0, s17
	v_and_b32_e32 v2, 0xfff, v0
.LBB32_47:                              ;   in Loop: Header=BB32_33 Depth=1
	s_or_b64 exec, exec, s[20:21]
                                        ; implicit-def: $vgpr3
.LBB32_48:                              ;   in Loop: Header=BB32_33 Depth=1
	s_andn2_saveexec_b64 s[18:19], s[18:19]
	s_cbranch_execz .LBB32_31
; %bb.49:                               ;   in Loop: Header=BB32_33 Depth=1
	s_waitcnt vmcnt(0)
	v_lshrrev_b32_e32 v2, v29, v3
	s_branch .LBB32_31
.LBB32_50:
	s_mul_i32 s26, s26, s16
	v_add_u32_e32 v0, s26, v12
	v_ashrrev_i32_e32 v1, 31, v0
	v_lshl_add_u64 v[2:3], v[0:1], 1, s[14:15]
	global_load_dword v5, v[2:3], off
	s_mov_b64 s[0:1], 0
.LBB32_51:                              ; =>This Inner Loop Header: Depth=1
	s_waitcnt vmcnt(0)
	v_pk_add_f16 v4, v32, v5
	global_atomic_cmpswap v1, v[2:3], v[4:5], off sc0
	s_waitcnt vmcnt(0)
	v_cmp_eq_u32_e32 vcc, v5, v1
	s_or_b64 s[0:1], vcc, s[0:1]
	v_mov_b32_e32 v5, v1
	s_andn2_b64 exec, exec, s[0:1]
	s_cbranch_execnz .LBB32_51
; %bb.52:
	s_or_b64 exec, exec, s[0:1]
	global_load_dword v5, v[2:3], off offset:4
	s_mov_b64 s[0:1], 0
.LBB32_53:                              ; =>This Inner Loop Header: Depth=1
	s_waitcnt vmcnt(0)
	v_pk_add_f16 v4, v31, v5
	global_atomic_cmpswap v1, v[2:3], v[4:5], off offset:4 sc0
	s_waitcnt vmcnt(0)
	v_cmp_eq_u32_e32 vcc, v5, v1
	s_or_b64 s[0:1], vcc, s[0:1]
	v_mov_b32_e32 v5, v1
	s_andn2_b64 exec, exec, s[0:1]
	s_cbranch_execnz .LBB32_53
; %bb.54:
	s_or_b64 exec, exec, s[0:1]
	v_add_u32_e32 v0, s16, v0
	v_ashrrev_i32_e32 v1, 31, v0
	v_lshl_add_u64 v[2:3], v[0:1], 1, s[14:15]
	global_load_dword v5, v[2:3], off
	s_mov_b64 s[0:1], 0
.LBB32_55:                              ; =>This Inner Loop Header: Depth=1
	s_waitcnt vmcnt(0)
	v_pk_add_f16 v4, v30, v5
	global_atomic_cmpswap v1, v[2:3], v[4:5], off sc0
	s_waitcnt vmcnt(0)
	v_cmp_eq_u32_e32 vcc, v5, v1
	s_or_b64 s[0:1], vcc, s[0:1]
	v_mov_b32_e32 v5, v1
	s_andn2_b64 exec, exec, s[0:1]
	s_cbranch_execnz .LBB32_55
; %bb.56:
	s_or_b64 exec, exec, s[0:1]
	global_load_dword v5, v[2:3], off offset:4
	s_mov_b64 s[0:1], 0
.LBB32_57:                              ; =>This Inner Loop Header: Depth=1
	s_waitcnt vmcnt(0)
	v_pk_add_f16 v4, v28, v5
	global_atomic_cmpswap v1, v[2:3], v[4:5], off offset:4 sc0
	s_waitcnt vmcnt(0)
	v_cmp_eq_u32_e32 vcc, v5, v1
	s_or_b64 s[0:1], vcc, s[0:1]
	v_mov_b32_e32 v5, v1
	s_andn2_b64 exec, exec, s[0:1]
	s_cbranch_execnz .LBB32_57
; %bb.58:
	s_or_b64 exec, exec, s[0:1]
	;; [unrolled: 31-line block ×4, first 2 shown]
	v_add_u32_e32 v0, s16, v0
	v_ashrrev_i32_e32 v1, 31, v0
	v_lshl_add_u64 v[0:1], v[0:1], 1, s[14:15]
	global_load_dword v3, v[0:1], off
	s_mov_b64 s[0:1], 0
.LBB32_67:                              ; =>This Inner Loop Header: Depth=1
	s_waitcnt vmcnt(0)
	v_pk_add_f16 v2, v15, v3
	global_atomic_cmpswap v2, v[0:1], v[2:3], off sc0
	s_waitcnt vmcnt(0)
	v_cmp_eq_u32_e32 vcc, v3, v2
	s_or_b64 s[0:1], vcc, s[0:1]
	v_mov_b32_e32 v3, v2
	s_andn2_b64 exec, exec, s[0:1]
	s_cbranch_execnz .LBB32_67
; %bb.68:
	s_or_b64 exec, exec, s[0:1]
	global_load_dword v3, v[0:1], off offset:4
	s_mov_b64 s[0:1], 0
.LBB32_69:                              ; =>This Inner Loop Header: Depth=1
	s_waitcnt vmcnt(0)
	v_pk_add_f16 v2, v13, v3
	global_atomic_cmpswap v2, v[0:1], v[2:3], off offset:4 sc0
	s_waitcnt vmcnt(0)
	v_cmp_eq_u32_e32 vcc, v3, v2
	s_or_b64 s[0:1], vcc, s[0:1]
	v_mov_b32_e32 v3, v2
	s_andn2_b64 exec, exec, s[0:1]
	s_cbranch_execnz .LBB32_69
.LBB32_70:
	s_endpgm
	.section	.rodata,"a",@progbits
	.p2align	6, 0x0
	.amdhsa_kernel _ZN4vllm4gptq33gemm_half_q_half_gptq_3bit_kernelILb1ELi5EEEvPK6__halfPKjS6_S4_PS2_iiiibPKi
		.amdhsa_group_segment_fixed_size 1280
		.amdhsa_private_segment_fixed_size 0
		.amdhsa_kernarg_size 72
		.amdhsa_user_sgpr_count 2
		.amdhsa_user_sgpr_dispatch_ptr 0
		.amdhsa_user_sgpr_queue_ptr 0
		.amdhsa_user_sgpr_kernarg_segment_ptr 1
		.amdhsa_user_sgpr_dispatch_id 0
		.amdhsa_user_sgpr_kernarg_preload_length 0
		.amdhsa_user_sgpr_kernarg_preload_offset 0
		.amdhsa_user_sgpr_private_segment_size 0
		.amdhsa_uses_dynamic_stack 0
		.amdhsa_enable_private_segment 0
		.amdhsa_system_sgpr_workgroup_id_x 1
		.amdhsa_system_sgpr_workgroup_id_y 1
		.amdhsa_system_sgpr_workgroup_id_z 1
		.amdhsa_system_sgpr_workgroup_info 0
		.amdhsa_system_vgpr_workitem_id 0
		.amdhsa_next_free_vgpr 117
		.amdhsa_next_free_sgpr 40
		.amdhsa_accum_offset 120
		.amdhsa_reserve_vcc 1
		.amdhsa_float_round_mode_32 0
		.amdhsa_float_round_mode_16_64 0
		.amdhsa_float_denorm_mode_32 3
		.amdhsa_float_denorm_mode_16_64 3
		.amdhsa_dx10_clamp 1
		.amdhsa_ieee_mode 1
		.amdhsa_fp16_overflow 0
		.amdhsa_tg_split 0
		.amdhsa_exception_fp_ieee_invalid_op 0
		.amdhsa_exception_fp_denorm_src 0
		.amdhsa_exception_fp_ieee_div_zero 0
		.amdhsa_exception_fp_ieee_overflow 0
		.amdhsa_exception_fp_ieee_underflow 0
		.amdhsa_exception_fp_ieee_inexact 0
		.amdhsa_exception_int_div_zero 0
	.end_amdhsa_kernel
	.section	.text._ZN4vllm4gptq33gemm_half_q_half_gptq_3bit_kernelILb1ELi5EEEvPK6__halfPKjS6_S4_PS2_iiiibPKi,"axG",@progbits,_ZN4vllm4gptq33gemm_half_q_half_gptq_3bit_kernelILb1ELi5EEEvPK6__halfPKjS6_S4_PS2_iiiibPKi,comdat
.Lfunc_end32:
	.size	_ZN4vllm4gptq33gemm_half_q_half_gptq_3bit_kernelILb1ELi5EEEvPK6__halfPKjS6_S4_PS2_iiiibPKi, .Lfunc_end32-_ZN4vllm4gptq33gemm_half_q_half_gptq_3bit_kernelILb1ELi5EEEvPK6__halfPKjS6_S4_PS2_iiiibPKi
                                        ; -- End function
	.set _ZN4vllm4gptq33gemm_half_q_half_gptq_3bit_kernelILb1ELi5EEEvPK6__halfPKjS6_S4_PS2_iiiibPKi.num_vgpr, 117
	.set _ZN4vllm4gptq33gemm_half_q_half_gptq_3bit_kernelILb1ELi5EEEvPK6__halfPKjS6_S4_PS2_iiiibPKi.num_agpr, 0
	.set _ZN4vllm4gptq33gemm_half_q_half_gptq_3bit_kernelILb1ELi5EEEvPK6__halfPKjS6_S4_PS2_iiiibPKi.numbered_sgpr, 40
	.set _ZN4vllm4gptq33gemm_half_q_half_gptq_3bit_kernelILb1ELi5EEEvPK6__halfPKjS6_S4_PS2_iiiibPKi.num_named_barrier, 0
	.set _ZN4vllm4gptq33gemm_half_q_half_gptq_3bit_kernelILb1ELi5EEEvPK6__halfPKjS6_S4_PS2_iiiibPKi.private_seg_size, 0
	.set _ZN4vllm4gptq33gemm_half_q_half_gptq_3bit_kernelILb1ELi5EEEvPK6__halfPKjS6_S4_PS2_iiiibPKi.uses_vcc, 1
	.set _ZN4vllm4gptq33gemm_half_q_half_gptq_3bit_kernelILb1ELi5EEEvPK6__halfPKjS6_S4_PS2_iiiibPKi.uses_flat_scratch, 0
	.set _ZN4vllm4gptq33gemm_half_q_half_gptq_3bit_kernelILb1ELi5EEEvPK6__halfPKjS6_S4_PS2_iiiibPKi.has_dyn_sized_stack, 0
	.set _ZN4vllm4gptq33gemm_half_q_half_gptq_3bit_kernelILb1ELi5EEEvPK6__halfPKjS6_S4_PS2_iiiibPKi.has_recursion, 0
	.set _ZN4vllm4gptq33gemm_half_q_half_gptq_3bit_kernelILb1ELi5EEEvPK6__halfPKjS6_S4_PS2_iiiibPKi.has_indirect_call, 0
	.section	.AMDGPU.csdata,"",@progbits
; Kernel info:
; codeLenInByte = 8068
; TotalNumSgprs: 46
; NumVgprs: 117
; NumAgprs: 0
; TotalNumVgprs: 117
; ScratchSize: 0
; MemoryBound: 0
; FloatMode: 240
; IeeeMode: 1
; LDSByteSize: 1280 bytes/workgroup (compile time only)
; SGPRBlocks: 5
; VGPRBlocks: 14
; NumSGPRsForWavesPerEU: 46
; NumVGPRsForWavesPerEU: 117
; AccumOffset: 120
; Occupancy: 4
; WaveLimiterHint : 0
; COMPUTE_PGM_RSRC2:SCRATCH_EN: 0
; COMPUTE_PGM_RSRC2:USER_SGPR: 2
; COMPUTE_PGM_RSRC2:TRAP_HANDLER: 0
; COMPUTE_PGM_RSRC2:TGID_X_EN: 1
; COMPUTE_PGM_RSRC2:TGID_Y_EN: 1
; COMPUTE_PGM_RSRC2:TGID_Z_EN: 1
; COMPUTE_PGM_RSRC2:TIDIG_COMP_CNT: 0
; COMPUTE_PGM_RSRC3_GFX90A:ACCUM_OFFSET: 29
; COMPUTE_PGM_RSRC3_GFX90A:TG_SPLIT: 0
	.section	.text._ZN4vllm4gptq33gemm_half_q_half_gptq_4bit_kernelILb1ELi5EEEvPK6__halfPKjS6_S4_PS2_iiiibPKi,"axG",@progbits,_ZN4vllm4gptq33gemm_half_q_half_gptq_4bit_kernelILb1ELi5EEEvPK6__halfPKjS6_S4_PS2_iiiibPKi,comdat
	.protected	_ZN4vllm4gptq33gemm_half_q_half_gptq_4bit_kernelILb1ELi5EEEvPK6__halfPKjS6_S4_PS2_iiiibPKi ; -- Begin function _ZN4vllm4gptq33gemm_half_q_half_gptq_4bit_kernelILb1ELi5EEEvPK6__halfPKjS6_S4_PS2_iiiibPKi
	.globl	_ZN4vllm4gptq33gemm_half_q_half_gptq_4bit_kernelILb1ELi5EEEvPK6__halfPKjS6_S4_PS2_iiiibPKi
	.p2align	8
	.type	_ZN4vllm4gptq33gemm_half_q_half_gptq_4bit_kernelILb1ELi5EEEvPK6__halfPKjS6_S4_PS2_iiiibPKi,@function
_ZN4vllm4gptq33gemm_half_q_half_gptq_4bit_kernelILb1ELi5EEEvPK6__halfPKjS6_S4_PS2_iiiibPKi: ; @_ZN4vllm4gptq33gemm_half_q_half_gptq_4bit_kernelILb1ELi5EEEvPK6__halfPKjS6_S4_PS2_iiiibPKi
; %bb.0:
	s_load_dwordx8 s[8:15], s[0:1], 0x8
	s_load_dwordx4 s[16:19], s[0:1], 0x2c
	s_lshl_b32 s25, s4, 7
	s_mul_i32 s24, s3, 5
	s_add_i32 s3, s25, 0x80
	v_cvt_f64_u32_e32 v[2:3], s3
	s_waitcnt lgkmcnt(0)
	v_cvt_f64_i32_e32 v[4:5], s17
	v_min_f64 v[2:3], v[2:3], v[4:5]
	v_cvt_i32_f64_e32 v1, v[2:3]
	v_add_u32_e32 v2, s25, v0
	v_readfirstlane_b32 s26, v1
	v_cmp_lt_u32_e32 vcc, v2, v1
	s_and_saveexec_b64 s[4:5], vcc
	s_cbranch_execz .LBB33_12
; %bb.1:
	s_load_dwordx2 s[22:23], s[0:1], 0x40
	s_load_dwordx2 s[6:7], s[0:1], 0x0
	v_mov_b32_e32 v3, 0
	v_mov_b64_e32 v[6:7], v[2:3]
	s_waitcnt lgkmcnt(0)
	s_cmp_lg_u64 s[22:23], 0
	s_cselect_b64 s[20:21], -1, 0
	s_cmp_eq_u64 s[22:23], 0
	v_lshl_add_u64 v[4:5], v[2:3], 2, s[22:23]
	s_cbranch_scc1 .LBB33_3
; %bb.2:
	global_load_dword v6, v[4:5], off
	s_waitcnt vmcnt(0)
	v_ashrrev_i32_e32 v7, 31, v6
.LBB33_3:
	s_mul_i32 s22, s24, s17
	s_ashr_i32 s23, s22, 31
	s_lshl_b64 s[0:1], s[22:23], 1
	s_add_u32 s0, s6, s0
	s_addc_u32 s1, s7, s1
	v_lshl_add_u64 v[6:7], v[6:7], 1, s[0:1]
	global_load_ushort v6, v[6:7], off
	v_lshlrev_b32_e32 v1, 1, v0
	v_cndmask_b32_e64 v7, 0, 1, s[20:21]
	v_cmp_ne_u32_e64 s[0:1], 1, v7
	s_andn2_b64 vcc, exec, s[20:21]
	s_waitcnt vmcnt(0)
	ds_write_b16 v1, v6
	v_mov_b64_e32 v[6:7], v[2:3]
	s_cbranch_vccnz .LBB33_5
; %bb.4:
	global_load_dword v6, v[4:5], off
	s_waitcnt vmcnt(0)
	v_ashrrev_i32_e32 v7, 31, v6
.LBB33_5:
	s_add_i32 s20, s22, s17
	s_ashr_i32 s21, s20, 31
	s_lshl_b64 s[22:23], s[20:21], 1
	s_add_u32 s22, s6, s22
	s_addc_u32 s23, s7, s23
	v_lshl_add_u64 v[6:7], v[6:7], 1, s[22:23]
	global_load_ushort v6, v[6:7], off
	s_and_b64 vcc, exec, s[0:1]
	s_waitcnt vmcnt(0)
	ds_write_b16 v1, v6 offset:256
	v_mov_b64_e32 v[6:7], v[2:3]
	s_cbranch_vccnz .LBB33_7
; %bb.6:
	global_load_dword v6, v[4:5], off
	s_waitcnt vmcnt(0)
	v_ashrrev_i32_e32 v7, 31, v6
.LBB33_7:
	s_add_i32 s20, s20, s17
	s_ashr_i32 s21, s20, 31
	s_lshl_b64 s[22:23], s[20:21], 1
	s_add_u32 s22, s6, s22
	s_addc_u32 s23, s7, s23
	v_lshl_add_u64 v[6:7], v[6:7], 1, s[22:23]
	global_load_ushort v6, v[6:7], off
	s_and_b64 vcc, exec, s[0:1]
	s_waitcnt vmcnt(0)
	ds_write_b16 v1, v6 offset:512
	;; [unrolled: 17-line block ×3, first 2 shown]
	s_cbranch_vccnz .LBB33_11
; %bb.10:
	global_load_dword v2, v[4:5], off
	s_waitcnt vmcnt(0)
	v_ashrrev_i32_e32 v3, 31, v2
.LBB33_11:
	s_add_i32 s0, s20, s17
	s_ashr_i32 s1, s0, 31
	s_lshl_b64 s[0:1], s[0:1], 1
	s_add_u32 s0, s6, s0
	s_addc_u32 s1, s7, s1
	v_lshl_add_u64 v[2:3], v[2:3], 1, s[0:1]
	global_load_ushort v2, v[2:3], off
	s_waitcnt vmcnt(0)
	ds_write_b16 v1, v2 offset:1024
.LBB33_12:
	s_or_b64 exec, exec, s[4:5]
	v_lshlrev_b32_e32 v1, 2, v0
	v_lshl_add_u32 v6, s2, 9, v1
	v_cmp_gt_i32_e32 vcc, s16, v6
	s_and_saveexec_b64 s[0:1], vcc
	s_cbranch_execz .LBB33_38
; %bb.13:
	s_abs_i32 s0, s18
	v_cvt_f32_u32_e32 v1, s0
	v_mov_b32_e32 v5, 0
	s_cmp_ge_i32 s25, s26
	v_mov_b32_e32 v4, v5
	v_rcp_iflag_f32_e32 v1, v1
	v_mov_b32_e32 v30, v5
	v_mov_b32_e32 v15, v5
	;; [unrolled: 1-line block ×3, first 2 shown]
	v_mul_f32_e32 v1, 0x4f7ffffe, v1
	v_cvt_u32_f32_e32 v1, v1
	v_mov_b32_e32 v29, v5
	v_mov_b32_e32 v32, v5
	;; [unrolled: 1-line block ×3, first 2 shown]
	v_readfirstlane_b32 s1, v1
	v_mov_b32_e32 v34, v5
	v_mov_b32_e32 v33, v5
	;; [unrolled: 1-line block ×12, first 2 shown]
	s_waitcnt lgkmcnt(0)
	s_barrier
	s_cbranch_scc1 .LBB33_18
; %bb.14:
	s_sub_i32 s5, 0, s0
	s_mul_i32 s5, s5, s1
	s_mul_hi_u32 s5, s1, s5
	s_abs_i32 s4, s17
	s_add_i32 s1, s1, s5
	s_ashr_i32 s2, s17, 31
	s_ashr_i32 s3, s18, 31
	s_mul_hi_u32 s1, s4, s1
	s_xor_b32 s2, s2, s3
	s_mul_i32 s3, s1, s0
	s_sub_i32 s3, s4, s3
	s_add_i32 s4, s1, 1
	s_sub_i32 s5, s3, s0
	s_cmp_ge_u32 s3, s0
	s_cselect_b32 s1, s4, s1
	s_cselect_b32 s3, s5, s3
	s_add_i32 s4, s1, 1
	s_cmp_ge_u32 s3, s0
	s_cselect_b32 s0, s4, s1
	s_xor_b32 s0, s0, s2
	s_sub_i32 s4, s0, s2
	v_cvt_f32_u32_e32 v1, s4
	s_bitcmp1_b32 s19, 0
	s_cselect_b64 s[0:1], -1, 0
	s_sub_i32 s2, 0, s4
	v_rcp_iflag_f32_e32 v1, v1
	s_xor_b64 s[0:1], s[0:1], -1
	v_ashrrev_i32_e32 v7, 31, v6
	v_lshrrev_b32_e32 v2, 29, v7
	v_mul_f32_e32 v1, 0x4f7ffffe, v1
	v_cvt_u32_f32_e32 v1, v1
	v_add_u32_e32 v2, v6, v2
	v_ashrrev_i32_e32 v37, 3, v2
	v_cndmask_b32_e64 v48, 0, 1, s[0:1]
	v_readfirstlane_b32 s3, v1
	s_mul_i32 s2, s2, s3
	s_mul_hi_u32 s2, s3, s2
	s_add_i32 s3, s3, s2
	s_mul_hi_u32 s2, s25, s3
	s_mul_i32 s3, s2, s4
	s_sub_i32 s3, s25, s3
	s_add_i32 s5, s2, 1
	s_sub_i32 s6, s3, s4
	s_cmp_ge_u32 s3, s4
	s_cselect_b32 s2, s5, s2
	s_cselect_b32 s3, s6, s3
	s_add_i32 s5, s2, 1
	s_cmp_ge_u32 s3, s4
	s_cselect_b32 s5, s5, s2
	s_mul_i32 s2, s5, s16
	s_ashr_i32 s3, s2, 31
	s_lshr_b32 s3, s3, 29
	s_add_i32 s3, s2, s3
	s_ashr_i32 s3, s3, 3
	v_add_u32_e32 v4, s3, v37
	v_add_u32_e32 v2, s2, v6
	v_ashrrev_i32_e32 v5, 31, v4
	v_ashrrev_i32_e32 v3, 31, v2
	v_lshl_add_u64 v[4:5], v[4:5], 2, s[10:11]
	v_lshl_add_u64 v[2:3], v[2:3], 1, s[12:13]
	global_load_dword v1, v[4:5], off
	s_lshr_b32 s0, s25, 3
	global_load_dwordx2 v[2:3], v[2:3], off
	v_lshlrev_b32_e32 v0, 4, v0
	s_mul_i32 s0, s16, s0
	v_and_b32_e32 v47, 16, v0
	s_ashr_i32 s1, s0, 31
	s_lshl_b64 s[0:1], s[0:1], 2
	s_add_u32 s0, s8, s0
	s_mov_b32 s18, 0x10001
	v_mov_b32_e32 v46, 0xe400e400
	s_addc_u32 s1, s9, s1
	v_lshl_add_u64 v[8:9], v[6:7], 2, s[0:1]
	s_mov_b32 s7, 0xd400
	v_mov_b32_e32 v4, 0
	s_ashr_i32 s17, s16, 31
	s_mov_b32 s6, 0
	s_movk_i32 s19, 0x2c00
	v_mov_b32_e32 v5, v4
	v_mov_b32_e32 v44, v4
	;; [unrolled: 1-line block ×18, first 2 shown]
	s_add_i32 s8, s4, s25
	s_lshl_b64 s[0:1], s[16:17], 4
	s_lshl_b64 s[2:3], s[16:17], 2
	v_mov_b32_e32 v30, v4
	s_waitcnt vmcnt(1)
	v_lshrrev_b32_e32 v0, v0, v1
	v_lshrrev_b32_e32 v1, 12, v0
	s_waitcnt vmcnt(0)
	v_cvt_f32_f16_e32 v49, v2
	v_cvt_f32_f16_sdwa v50, v2 dst_sel:DWORD dst_unused:UNUSED_PAD src0_sel:WORD_1
	v_cvt_f32_f16_e32 v10, v3
	v_cvt_f32_f16_sdwa v11, v3 dst_sel:DWORD dst_unused:UNUSED_PAD src0_sel:WORD_1
	v_lshrrev_b32_e32 v2, 8, v0
	v_lshrrev_b32_e32 v3, 4, v0
	v_and_b32_e32 v0, 15, v0
	v_and_b32_e32 v1, 15, v1
	;; [unrolled: 1-line block ×4, first 2 shown]
	v_add_u32_e32 v0, v0, v48
	v_add_u32_e32 v2, v2, v48
	;; [unrolled: 1-line block ×4, first 2 shown]
	v_cvt_f32_ubyte0_e32 v7, v0
	v_mad_u32_u24 v51, v0, s18, v46
	v_cvt_f32_ubyte0_e32 v0, v1
	v_cvt_f32_ubyte0_e32 v12, v2
	v_mad_u32_u24 v54, v1, s18, v46
	v_cvt_f32_ubyte0_e32 v1, v3
	v_cvt_pk_f16_f32 v0, v12, v0
	v_cvt_pk_f16_f32 v1, v7, v1
	v_pk_add_f16 v0, v0, s7 op_sel_hi:[1,0] neg_lo:[1,0] neg_hi:[1,0]
	v_pk_add_f16 v1, v1, s7 op_sel_hi:[1,0] neg_lo:[1,0] neg_hi:[1,0]
	v_mad_u32_u24 v52, v2, s18, v46
	v_mad_u32_u24 v53, v3, s18, v46
	v_mul_u32_u24_sdwa v14, v0, s18 dst_sel:DWORD dst_unused:UNUSED_PAD src0_sel:WORD_0 src1_sel:DWORD
	v_mul_u32_u24_sdwa v13, v0, s18 dst_sel:DWORD dst_unused:UNUSED_PAD src0_sel:WORD_1 src1_sel:DWORD
	v_mul_u32_u24_sdwa v12, v1, s18 dst_sel:DWORD dst_unused:UNUSED_PAD src0_sel:WORD_0 src1_sel:DWORD
	v_mul_u32_u24_sdwa v7, v1, s18 dst_sel:DWORD dst_unused:UNUSED_PAD src0_sel:WORD_1 src1_sel:DWORD
	s_branch .LBB33_16
.LBB33_15:                              ;   in Loop: Header=BB33_16 Depth=1
	global_load_dwordx4 v[22:25], v[8:9], off
	s_add_i32 s9, s6, 0x400
	s_add_i32 s25, s25, 32
	s_waitcnt vmcnt(0)
	v_lshrrev_b32_e32 v2, 8, v22
	v_and_b32_e32 v0, 0xf000f, v22
	v_and_b32_e32 v1, 0xf000f0, v22
	v_and_b32_e32 v3, 0xf000f, v2
	v_and_b32_e32 v2, 0xf000f0, v2
	v_lshrrev_b32_e32 v18, 8, v23
	v_or_b32_e32 v0, 0x64006400, v0
	v_or_b32_e32 v1, 0x64006400, v1
	;; [unrolled: 1-line block ×4, first 2 shown]
	v_and_b32_e32 v19, 0xf000f, v18
	v_and_b32_e32 v18, 0xf000f0, v18
	v_lshrrev_b32_e32 v22, 8, v24
	v_pk_add_f16 v3, v51, v0
	v_pk_fma_f16 v2, v1, s19, v12 op_sel_hi:[1,0,1]
	v_pk_add_f16 v0, v51, v16
	v_pk_fma_f16 v1, v17, s19, v12 op_sel_hi:[1,0,1]
	v_and_b32_e32 v16, 0xf000f, v23
	v_and_b32_e32 v17, 0xf000f0, v23
	v_or_b32_e32 v19, 0x64006400, v19
	v_or_b32_e32 v20, 0x64006400, v18
	v_and_b32_e32 v23, 0xf000f, v22
	v_and_b32_e32 v22, 0xf000f0, v22
	v_pk_add_f16 v18, v53, v19
	v_pk_fma_f16 v19, v20, s19, v7 op_sel_hi:[1,0,1]
	v_and_b32_e32 v20, 0xf000f, v24
	v_and_b32_e32 v21, 0xf000f0, v24
	v_or_b32_e32 v23, 0x64006400, v23
	v_or_b32_e32 v24, 0x64006400, v22
	v_pk_add_f16 v22, v52, v23
	v_pk_fma_f16 v23, v24, s19, v14 op_sel_hi:[1,0,1]
	v_and_b32_e32 v24, 0xf000f, v25
	v_and_b32_e32 v26, 0xf000f0, v25
	v_lshrrev_b32_e32 v25, 8, v25
	v_and_b32_e32 v27, 0xf000f, v25
	v_and_b32_e32 v25, 0xf000f0, v25
	v_or_b32_e32 v26, 0x64006400, v26
	v_or_b32_e32 v27, 0x64006400, v27
	;; [unrolled: 1-line block ×3, first 2 shown]
	v_pk_fma_f16 v25, v26, s19, v13 op_sel_hi:[1,0,1]
	v_pk_add_f16 v26, v54, v27
	v_pk_fma_f16 v27, v55, s19, v13 op_sel_hi:[1,0,1]
	v_mov_b32_e32 v55, s6
	ds_read2_b32 v[56:57], v55 offset1:1
	v_or_b32_e32 v16, 0x64006400, v16
	v_or_b32_e32 v17, 0x64006400, v17
	v_pk_add_f16 v16, v53, v16
	v_pk_fma_f16 v17, v17, s19, v7 op_sel_hi:[1,0,1]
	s_waitcnt lgkmcnt(0)
	v_pk_fma_f16 v58, v3, v56, 0
	v_or_b32_e32 v20, 0x64006400, v20
	v_pk_fma_f16 v60, v2, v57, v58
	ds_read2_b32 v[58:59], v55 offset0:2 offset1:3
	v_or_b32_e32 v24, 0x64006400, v24
	v_pk_add_f16 v20, v52, v20
	v_pk_add_f16 v24, v54, v24
	v_or_b32_e32 v21, 0x64006400, v21
	s_waitcnt lgkmcnt(0)
	v_pk_fma_f16 v60, v0, v58, v60
	v_pk_fma_f16 v21, v21, s19, v14 op_sel_hi:[1,0,1]
	v_pk_fma_f16 v60, v1, v59, v60
	s_nop 0
	v_cvt_f32_f16_e32 v61, v60
	v_cvt_f32_f16_sdwa v60, v60 dst_sel:DWORD dst_unused:UNUSED_PAD src0_sel:WORD_1
	v_add_f32_e32 v60, v60, v61
	v_fmac_f32_e32 v44, v60, v49
	v_pk_fma_f16 v60, v16, v56, 0
	s_nop 0
	v_pk_fma_f16 v60, v17, v57, v60
	s_nop 0
	v_pk_fma_f16 v60, v18, v58, v60
	s_nop 0
	v_pk_fma_f16 v60, v19, v59, v60
	s_nop 0
	v_cvt_f32_f16_e32 v61, v60
	v_cvt_f32_f16_sdwa v60, v60 dst_sel:DWORD dst_unused:UNUSED_PAD src0_sel:WORD_1
	v_add_f32_e32 v60, v60, v61
	v_fmac_f32_e32 v45, v60, v50
	v_pk_fma_f16 v60, v20, v56, 0
	v_pk_fma_f16 v56, v24, v56, 0
	v_pk_fma_f16 v60, v21, v57, v60
	v_pk_fma_f16 v56, v25, v57, v56
	v_pk_fma_f16 v60, v22, v58, v60
	v_pk_fma_f16 v56, v26, v58, v56
	v_pk_fma_f16 v60, v23, v59, v60
	v_pk_fma_f16 v56, v27, v59, v56
	v_cvt_f32_f16_e32 v61, v60
	v_cvt_f32_f16_e32 v57, v56
	v_cvt_f32_f16_sdwa v56, v56 dst_sel:DWORD dst_unused:UNUSED_PAD src0_sel:WORD_1
	v_cvt_f32_f16_sdwa v60, v60 dst_sel:DWORD dst_unused:UNUSED_PAD src0_sel:WORD_1
	v_add_f32_e32 v56, v56, v57
	v_fmac_f32_e32 v43, v56, v11
	ds_read2_b32 v[56:57], v55 offset0:64 offset1:65
	v_add_f32_e32 v60, v60, v61
	v_fmac_f32_e32 v42, v60, v10
	s_waitcnt lgkmcnt(0)
	v_pk_fma_f16 v58, v3, v56, 0
	s_nop 0
	v_pk_fma_f16 v60, v2, v57, v58
	ds_read2_b32 v[58:59], v55 offset0:66 offset1:67
	s_waitcnt lgkmcnt(0)
	v_pk_fma_f16 v60, v0, v58, v60
	s_nop 0
	v_pk_fma_f16 v60, v1, v59, v60
	s_nop 0
	v_cvt_f32_f16_e32 v61, v60
	v_cvt_f32_f16_sdwa v60, v60 dst_sel:DWORD dst_unused:UNUSED_PAD src0_sel:WORD_1
	v_add_f32_e32 v60, v60, v61
	v_fmac_f32_e32 v40, v60, v49
	v_pk_fma_f16 v60, v16, v56, 0
	s_nop 0
	v_pk_fma_f16 v60, v17, v57, v60
	s_nop 0
	v_pk_fma_f16 v60, v18, v58, v60
	s_nop 0
	v_pk_fma_f16 v60, v19, v59, v60
	s_nop 0
	v_cvt_f32_f16_e32 v61, v60
	v_cvt_f32_f16_sdwa v60, v60 dst_sel:DWORD dst_unused:UNUSED_PAD src0_sel:WORD_1
	v_add_f32_e32 v60, v60, v61
	v_fmac_f32_e32 v41, v60, v50
	v_pk_fma_f16 v60, v20, v56, 0
	v_pk_fma_f16 v56, v24, v56, 0
	v_pk_fma_f16 v60, v21, v57, v60
	v_pk_fma_f16 v56, v25, v57, v56
	v_pk_fma_f16 v60, v22, v58, v60
	v_pk_fma_f16 v56, v26, v58, v56
	v_pk_fma_f16 v60, v23, v59, v60
	v_pk_fma_f16 v56, v27, v59, v56
	v_cvt_f32_f16_e32 v61, v60
	v_cvt_f32_f16_e32 v57, v56
	v_cvt_f32_f16_sdwa v56, v56 dst_sel:DWORD dst_unused:UNUSED_PAD src0_sel:WORD_1
	v_cvt_f32_f16_sdwa v60, v60 dst_sel:DWORD dst_unused:UNUSED_PAD src0_sel:WORD_1
	v_add_f32_e32 v56, v56, v57
	v_fmac_f32_e32 v39, v56, v11
	ds_read2_b32 v[56:57], v55 offset0:128 offset1:129
	v_add_f32_e32 v60, v60, v61
	v_fmac_f32_e32 v38, v60, v10
	s_waitcnt lgkmcnt(0)
	v_pk_fma_f16 v58, v3, v56, 0
	s_nop 0
	v_pk_fma_f16 v60, v2, v57, v58
	ds_read2_b32 v[58:59], v55 offset0:130 offset1:131
	s_waitcnt lgkmcnt(0)
	v_pk_fma_f16 v60, v0, v58, v60
	s_nop 0
	v_pk_fma_f16 v60, v1, v59, v60
	s_nop 0
	v_cvt_f32_f16_e32 v61, v60
	v_cvt_f32_f16_sdwa v60, v60 dst_sel:DWORD dst_unused:UNUSED_PAD src0_sel:WORD_1
	v_add_f32_e32 v60, v60, v61
	v_fmac_f32_e32 v35, v60, v49
	v_pk_fma_f16 v60, v16, v56, 0
	s_nop 0
	v_pk_fma_f16 v60, v17, v57, v60
	s_nop 0
	v_pk_fma_f16 v60, v18, v58, v60
	s_nop 0
	v_pk_fma_f16 v60, v19, v59, v60
	s_nop 0
	v_cvt_f32_f16_e32 v61, v60
	v_cvt_f32_f16_sdwa v60, v60 dst_sel:DWORD dst_unused:UNUSED_PAD src0_sel:WORD_1
	v_add_f32_e32 v60, v60, v61
	v_fmac_f32_e32 v36, v60, v50
	v_pk_fma_f16 v60, v20, v56, 0
	v_pk_fma_f16 v56, v24, v56, 0
	v_pk_fma_f16 v60, v21, v57, v60
	v_pk_fma_f16 v56, v25, v57, v56
	v_pk_fma_f16 v60, v22, v58, v60
	v_pk_fma_f16 v56, v26, v58, v56
	v_pk_fma_f16 v60, v23, v59, v60
	v_pk_fma_f16 v56, v27, v59, v56
	v_cvt_f32_f16_e32 v61, v60
	v_cvt_f32_f16_e32 v57, v56
	v_cvt_f32_f16_sdwa v56, v56 dst_sel:DWORD dst_unused:UNUSED_PAD src0_sel:WORD_1
	v_cvt_f32_f16_sdwa v60, v60 dst_sel:DWORD dst_unused:UNUSED_PAD src0_sel:WORD_1
	v_add_f32_e32 v56, v56, v57
	v_fmac_f32_e32 v34, v56, v11
	ds_read2_b32 v[56:57], v55 offset0:192 offset1:193
	v_add_f32_e32 v60, v60, v61
	v_fmac_f32_e32 v33, v60, v10
	s_waitcnt lgkmcnt(0)
	v_pk_fma_f16 v58, v3, v56, 0
	s_nop 0
	v_pk_fma_f16 v60, v2, v57, v58
	ds_read2_b32 v[58:59], v55 offset0:194 offset1:195
	s_waitcnt lgkmcnt(0)
	v_pk_fma_f16 v60, v0, v58, v60
	s_nop 0
	v_pk_fma_f16 v60, v1, v59, v60
	s_nop 0
	v_cvt_f32_f16_e32 v61, v60
	v_cvt_f32_f16_sdwa v60, v60 dst_sel:DWORD dst_unused:UNUSED_PAD src0_sel:WORD_1
	v_add_f32_e32 v60, v60, v61
	v_fmac_f32_e32 v31, v60, v49
	v_pk_fma_f16 v60, v16, v56, 0
	s_nop 0
	v_pk_fma_f16 v60, v17, v57, v60
	s_nop 0
	;; [unrolled: 2-line block ×4, first 2 shown]
	v_cvt_f32_f16_e32 v61, v60
	v_cvt_f32_f16_sdwa v60, v60 dst_sel:DWORD dst_unused:UNUSED_PAD src0_sel:WORD_1
	v_add_f32_e32 v60, v60, v61
	v_fmac_f32_e32 v32, v60, v50
	v_pk_fma_f16 v60, v20, v56, 0
	v_pk_fma_f16 v56, v24, v56, 0
	;; [unrolled: 1-line block ×8, first 2 shown]
	v_cvt_f32_f16_e32 v61, v60
	v_cvt_f32_f16_e32 v57, v56
	v_cvt_f32_f16_sdwa v56, v56 dst_sel:DWORD dst_unused:UNUSED_PAD src0_sel:WORD_1
	v_cvt_f32_f16_sdwa v60, v60 dst_sel:DWORD dst_unused:UNUSED_PAD src0_sel:WORD_1
	v_add_f32_e32 v56, v56, v57
	v_fmac_f32_e32 v28, v56, v11
	v_mov_b32_e32 v56, s9
	ds_read2_b32 v[56:57], v56 offset1:1
	s_add_i32 s9, s6, 0x408
	v_add_f32_e32 v60, v60, v61
	v_fmac_f32_e32 v29, v60, v10
	s_waitcnt lgkmcnt(0)
	v_pk_fma_f16 v3, v3, v56, 0
	s_nop 0
	v_pk_fma_f16 v58, v2, v57, v3
	v_mov_b32_e32 v2, s9
	ds_read2_b32 v[2:3], v2 offset1:1
	s_add_i32 s9, s6, 0x410
	s_waitcnt lgkmcnt(0)
	v_pk_fma_f16 v0, v0, v2, v58
	s_nop 0
	v_pk_fma_f16 v0, v1, v3, v0
	s_nop 0
	v_cvt_f32_f16_e32 v1, v0
	v_cvt_f32_f16_sdwa v0, v0 dst_sel:DWORD dst_unused:UNUSED_PAD src0_sel:WORD_1
	v_add_f32_e32 v0, v0, v1
	v_fmac_f32_e32 v15, v0, v49
	v_pk_fma_f16 v0, v16, v56, 0
	s_nop 0
	v_pk_fma_f16 v0, v17, v57, v0
	s_nop 0
	;; [unrolled: 2-line block ×4, first 2 shown]
	v_cvt_f32_f16_e32 v1, v0
	v_cvt_f32_f16_sdwa v0, v0 dst_sel:DWORD dst_unused:UNUSED_PAD src0_sel:WORD_1
	v_add_f32_e32 v0, v0, v1
	v_fmac_f32_e32 v30, v0, v50
	v_pk_fma_f16 v0, v20, v56, 0
	s_nop 0
	v_pk_fma_f16 v0, v21, v57, v0
	s_nop 0
	;; [unrolled: 2-line block ×4, first 2 shown]
	v_cvt_f32_f16_e32 v16, v0
	v_cvt_f32_f16_sdwa v18, v0 dst_sel:DWORD dst_unused:UNUSED_PAD src0_sel:WORD_1
	v_pk_fma_f16 v0, v24, v56, 0
	s_nop 0
	v_pk_fma_f16 v0, v25, v57, v0
	s_nop 0
	;; [unrolled: 2-line block ×4, first 2 shown]
	v_cvt_f32_f16_sdwa v19, v0 dst_sel:DWORD dst_unused:UNUSED_PAD src0_sel:WORD_1
	v_cvt_f32_f16_e32 v17, v0
	v_lshl_add_u64 v[0:1], v[8:9], 0, s[2:3]
	global_load_dwordx4 v[20:23], v[0:1], off
	v_lshl_add_u64 v[8:9], v[8:9], 0, s[0:1]
	v_pk_add_f32 v[16:17], v[16:17], v[18:19]
	s_waitcnt vmcnt(0)
	v_and_b32_e32 v2, 0xf000f, v20
	v_and_b32_e32 v3, 0xf000f0, v20
	v_lshrrev_b32_e32 v20, 8, v20
	v_or_b32_e32 v2, 0x64006400, v2
	v_or_b32_e32 v3, 0x64006400, v3
	v_and_b32_e32 v24, 0xf000f, v20
	v_and_b32_e32 v20, 0xf000f0, v20
	v_or_b32_e32 v20, 0x64006400, v20
	v_pk_add_f16 v65, v51, v2
	v_pk_fma_f16 v64, v3, s19, v12 op_sel_hi:[1,0,1]
	v_and_b32_e32 v2, 0xf000f, v21
	v_and_b32_e32 v3, 0xf000f0, v21
	v_pk_fma_f16 v63, v20, s19, v12 op_sel_hi:[1,0,1]
	v_or_b32_e32 v2, 0x64006400, v2
	v_or_b32_e32 v3, 0x64006400, v3
	v_lshrrev_b32_e32 v20, 8, v21
	v_and_b32_e32 v21, 0xf000f, v20
	v_and_b32_e32 v20, 0xf000f0, v20
	v_pk_add_f16 v58, v53, v2
	v_pk_fma_f16 v59, v3, s19, v7 op_sel_hi:[1,0,1]
	v_and_b32_e32 v2, 0xf000f, v22
	v_and_b32_e32 v3, 0xf000f0, v22
	v_or_b32_e32 v20, 0x64006400, v20
	v_or_b32_e32 v2, 0x64006400, v2
	;; [unrolled: 1-line block ×3, first 2 shown]
	v_pk_fma_f16 v61, v20, s19, v7 op_sel_hi:[1,0,1]
	v_lshrrev_b32_e32 v20, 8, v22
	v_pk_add_f16 v22, v52, v2
	v_pk_fma_f16 v27, v3, s19, v14 op_sel_hi:[1,0,1]
	v_and_b32_e32 v2, 0xf000f, v23
	v_and_b32_e32 v3, 0xf000f0, v23
	v_or_b32_e32 v21, 0x64006400, v21
	v_or_b32_e32 v2, 0x64006400, v2
	;; [unrolled: 1-line block ×3, first 2 shown]
	v_pk_add_f16 v60, v53, v21
	v_and_b32_e32 v21, 0xf000f, v20
	v_and_b32_e32 v20, 0xf000f0, v20
	v_pk_add_f16 v25, v54, v2
	v_pk_fma_f16 v26, v3, s19, v13 op_sel_hi:[1,0,1]
	ds_read2_b32 v[2:3], v55 offset0:4 offset1:5
	v_or_b32_e32 v20, 0x64006400, v20
	v_or_b32_e32 v21, 0x64006400, v21
	v_pk_fma_f16 v57, v20, s19, v14 op_sel_hi:[1,0,1]
	v_lshrrev_b32_e32 v20, 8, v23
	v_pk_add_f16 v56, v52, v21
	v_and_b32_e32 v21, 0xf000f, v20
	v_and_b32_e32 v20, 0xf000f0, v20
	v_or_b32_e32 v24, 0x64006400, v24
	v_or_b32_e32 v20, 0x64006400, v20
	v_pk_add_f16 v62, v51, v24
	v_or_b32_e32 v21, 0x64006400, v21
	v_pk_fma_f16 v24, v20, s19, v13 op_sel_hi:[1,0,1]
	s_waitcnt lgkmcnt(0)
	v_pk_fma_f16 v20, v65, v2, 0
	v_pk_add_f16 v23, v54, v21
	v_pk_fma_f16 v66, v64, v3, v20
	ds_read2_b32 v[20:21], v55 offset0:6 offset1:7
	v_pk_fma_f32 v[4:5], v[16:17], v[10:11], v[4:5]
	s_waitcnt lgkmcnt(0)
	v_pk_fma_f16 v66, v62, v20, v66
	s_nop 0
	v_pk_fma_f16 v66, v63, v21, v66
	s_nop 0
	v_cvt_f32_f16_e32 v67, v66
	v_cvt_f32_f16_sdwa v66, v66 dst_sel:DWORD dst_unused:UNUSED_PAD src0_sel:WORD_1
	v_add_f32_e32 v66, v66, v67
	v_fmac_f32_e32 v44, v66, v49
	v_pk_fma_f16 v66, v58, v2, 0
	s_nop 0
	v_pk_fma_f16 v66, v59, v3, v66
	s_nop 0
	v_pk_fma_f16 v66, v60, v20, v66
	s_nop 0
	v_pk_fma_f16 v66, v61, v21, v66
	s_nop 0
	v_cvt_f32_f16_e32 v67, v66
	v_cvt_f32_f16_sdwa v66, v66 dst_sel:DWORD dst_unused:UNUSED_PAD src0_sel:WORD_1
	v_add_f32_e32 v66, v66, v67
	v_fmac_f32_e32 v45, v66, v50
	v_pk_fma_f16 v66, v22, v2, 0
	v_pk_fma_f16 v2, v25, v2, 0
	v_pk_fma_f16 v66, v27, v3, v66
	v_pk_fma_f16 v2, v26, v3, v2
	v_pk_fma_f16 v66, v56, v20, v66
	v_pk_fma_f16 v2, v23, v20, v2
	v_pk_fma_f16 v66, v57, v21, v66
	v_pk_fma_f16 v2, v24, v21, v2
	v_cvt_f32_f16_e32 v67, v66
	v_cvt_f32_f16_e32 v3, v2
	v_cvt_f32_f16_sdwa v2, v2 dst_sel:DWORD dst_unused:UNUSED_PAD src0_sel:WORD_1
	v_cvt_f32_f16_sdwa v66, v66 dst_sel:DWORD dst_unused:UNUSED_PAD src0_sel:WORD_1
	v_add_f32_e32 v2, v2, v3
	v_fmac_f32_e32 v43, v2, v11
	ds_read2_b32 v[2:3], v55 offset0:68 offset1:69
	v_add_f32_e32 v66, v66, v67
	v_fmac_f32_e32 v42, v66, v10
	s_waitcnt lgkmcnt(0)
	v_pk_fma_f16 v20, v65, v2, 0
	s_nop 0
	v_pk_fma_f16 v66, v64, v3, v20
	ds_read2_b32 v[20:21], v55 offset0:70 offset1:71
	s_waitcnt lgkmcnt(0)
	v_pk_fma_f16 v66, v62, v20, v66
	s_nop 0
	v_pk_fma_f16 v66, v63, v21, v66
	s_nop 0
	v_cvt_f32_f16_e32 v67, v66
	v_cvt_f32_f16_sdwa v66, v66 dst_sel:DWORD dst_unused:UNUSED_PAD src0_sel:WORD_1
	v_add_f32_e32 v66, v66, v67
	v_fmac_f32_e32 v40, v66, v49
	v_pk_fma_f16 v66, v58, v2, 0
	s_nop 0
	v_pk_fma_f16 v66, v59, v3, v66
	s_nop 0
	v_pk_fma_f16 v66, v60, v20, v66
	s_nop 0
	v_pk_fma_f16 v66, v61, v21, v66
	s_nop 0
	v_cvt_f32_f16_e32 v67, v66
	v_cvt_f32_f16_sdwa v66, v66 dst_sel:DWORD dst_unused:UNUSED_PAD src0_sel:WORD_1
	v_add_f32_e32 v66, v66, v67
	v_fmac_f32_e32 v41, v66, v50
	v_pk_fma_f16 v66, v22, v2, 0
	v_pk_fma_f16 v2, v25, v2, 0
	v_pk_fma_f16 v66, v27, v3, v66
	v_pk_fma_f16 v2, v26, v3, v2
	v_pk_fma_f16 v66, v56, v20, v66
	v_pk_fma_f16 v2, v23, v20, v2
	v_pk_fma_f16 v66, v57, v21, v66
	v_pk_fma_f16 v2, v24, v21, v2
	v_cvt_f32_f16_e32 v67, v66
	v_cvt_f32_f16_e32 v3, v2
	v_cvt_f32_f16_sdwa v2, v2 dst_sel:DWORD dst_unused:UNUSED_PAD src0_sel:WORD_1
	v_cvt_f32_f16_sdwa v66, v66 dst_sel:DWORD dst_unused:UNUSED_PAD src0_sel:WORD_1
	v_add_f32_e32 v2, v2, v3
	v_fmac_f32_e32 v39, v2, v11
	ds_read2_b32 v[2:3], v55 offset0:132 offset1:133
	v_add_f32_e32 v66, v66, v67
	v_fmac_f32_e32 v38, v66, v10
	s_waitcnt lgkmcnt(0)
	v_pk_fma_f16 v20, v65, v2, 0
	s_nop 0
	v_pk_fma_f16 v66, v64, v3, v20
	ds_read2_b32 v[20:21], v55 offset0:134 offset1:135
	;; [unrolled: 43-line block ×3, first 2 shown]
	s_waitcnt lgkmcnt(0)
	v_pk_fma_f16 v66, v62, v20, v66
	s_nop 0
	v_pk_fma_f16 v66, v63, v21, v66
	s_nop 0
	v_cvt_f32_f16_e32 v67, v66
	v_cvt_f32_f16_sdwa v66, v66 dst_sel:DWORD dst_unused:UNUSED_PAD src0_sel:WORD_1
	v_add_f32_e32 v66, v66, v67
	v_fmac_f32_e32 v31, v66, v49
	v_pk_fma_f16 v66, v58, v2, 0
	s_nop 0
	v_pk_fma_f16 v66, v59, v3, v66
	s_nop 0
	;; [unrolled: 2-line block ×4, first 2 shown]
	v_cvt_f32_f16_e32 v67, v66
	v_cvt_f32_f16_sdwa v66, v66 dst_sel:DWORD dst_unused:UNUSED_PAD src0_sel:WORD_1
	v_add_f32_e32 v66, v66, v67
	v_fmac_f32_e32 v32, v66, v50
	v_pk_fma_f16 v66, v22, v2, 0
	v_pk_fma_f16 v2, v25, v2, 0
	;; [unrolled: 1-line block ×8, first 2 shown]
	v_cvt_f32_f16_e32 v67, v66
	v_cvt_f32_f16_e32 v3, v2
	v_cvt_f32_f16_sdwa v2, v2 dst_sel:DWORD dst_unused:UNUSED_PAD src0_sel:WORD_1
	v_cvt_f32_f16_sdwa v66, v66 dst_sel:DWORD dst_unused:UNUSED_PAD src0_sel:WORD_1
	v_add_f32_e32 v2, v2, v3
	v_add_f32_e32 v66, v66, v67
	v_fmac_f32_e32 v28, v2, v11
	v_mov_b32_e32 v2, s9
	v_fmac_f32_e32 v29, v66, v10
	ds_read2_b32 v[66:67], v2 offset1:1
	s_add_i32 s9, s6, 0x418
	s_waitcnt lgkmcnt(0)
	v_pk_fma_f16 v2, v65, v66, 0
	s_nop 0
	v_pk_fma_f16 v20, v64, v67, v2
	v_mov_b32_e32 v2, s9
	ds_read2_b32 v[2:3], v2 offset1:1
	s_add_i32 s9, s6, 0x420
	s_waitcnt lgkmcnt(0)
	v_pk_fma_f16 v20, v62, v2, v20
	s_nop 0
	v_pk_fma_f16 v20, v63, v3, v20
	s_nop 0
	v_cvt_f32_f16_e32 v21, v20
	v_cvt_f32_f16_sdwa v20, v20 dst_sel:DWORD dst_unused:UNUSED_PAD src0_sel:WORD_1
	v_add_f32_e32 v20, v20, v21
	v_fmac_f32_e32 v15, v20, v49
	v_pk_fma_f16 v20, v58, v66, 0
	s_nop 0
	v_pk_fma_f16 v20, v59, v67, v20
	s_nop 0
	;; [unrolled: 2-line block ×4, first 2 shown]
	v_cvt_f32_f16_e32 v21, v20
	v_cvt_f32_f16_sdwa v20, v20 dst_sel:DWORD dst_unused:UNUSED_PAD src0_sel:WORD_1
	v_add_f32_e32 v20, v20, v21
	v_fmac_f32_e32 v30, v20, v50
	v_pk_fma_f16 v20, v22, v66, 0
	s_nop 0
	v_pk_fma_f16 v20, v27, v67, v20
	s_nop 0
	;; [unrolled: 2-line block ×4, first 2 shown]
	v_cvt_f32_f16_e32 v20, v21
	v_cvt_f32_f16_sdwa v22, v21 dst_sel:DWORD dst_unused:UNUSED_PAD src0_sel:WORD_1
	v_pk_fma_f16 v21, v25, v66, 0
	s_nop 0
	v_pk_fma_f16 v21, v26, v67, v21
	s_nop 0
	;; [unrolled: 2-line block ×3, first 2 shown]
	v_pk_fma_f16 v2, v24, v3, v2
	v_lshl_add_u64 v[24:25], v[0:1], 0, s[2:3]
	v_cvt_f32_f16_sdwa v23, v2 dst_sel:DWORD dst_unused:UNUSED_PAD src0_sel:WORD_1
	v_cvt_f32_f16_e32 v21, v2
	global_load_dwordx4 v[0:3], v[24:25], off
	v_lshl_add_u64 v[24:25], v[24:25], 0, s[2:3]
	v_pk_add_f32 v[16:17], v[20:21], v[22:23]
	s_nop 0
	v_pk_fma_f32 v[4:5], v[16:17], v[10:11], v[4:5]
	s_waitcnt vmcnt(0)
	v_and_b32_e32 v26, 0xf000f, v0
	v_and_b32_e32 v27, 0xf000f0, v0
	v_lshrrev_b32_e32 v0, 8, v0
	v_and_b32_e32 v56, 0xf000f, v0
	v_and_b32_e32 v0, 0xf000f0, v0
	v_or_b32_e32 v26, 0x64006400, v26
	v_or_b32_e32 v57, 0x64006400, v56
	v_or_b32_e32 v58, 0x64006400, v0
	v_pk_add_f16 v56, v51, v26
	v_pk_add_f16 v0, v51, v57
	v_pk_fma_f16 v26, v58, s19, v12 op_sel_hi:[1,0,1]
	v_and_b32_e32 v57, 0xf000f, v1
	v_and_b32_e32 v58, 0xf000f0, v1
	v_lshrrev_b32_e32 v1, 8, v1
	v_and_b32_e32 v59, 0xf000f, v1
	v_and_b32_e32 v1, 0xf000f0, v1
	v_or_b32_e32 v57, 0x64006400, v57
	v_or_b32_e32 v58, 0x64006400, v58
	;; [unrolled: 1-line block ×4, first 2 shown]
	v_pk_add_f16 v1, v53, v57
	v_pk_fma_f16 v57, v58, s19, v7 op_sel_hi:[1,0,1]
	v_pk_add_f16 v58, v53, v59
	v_pk_fma_f16 v59, v60, s19, v7 op_sel_hi:[1,0,1]
	v_and_b32_e32 v60, 0xf000f, v2
	v_and_b32_e32 v61, 0xf000f0, v2
	v_lshrrev_b32_e32 v2, 8, v2
	v_and_b32_e32 v62, 0xf000f, v2
	v_and_b32_e32 v2, 0xf000f0, v2
	v_or_b32_e32 v60, 0x64006400, v60
	v_or_b32_e32 v61, 0x64006400, v61
	v_or_b32_e32 v62, 0x64006400, v62
	v_or_b32_e32 v63, 0x64006400, v2
	v_pk_add_f16 v2, v52, v60
	v_pk_fma_f16 v60, v61, s19, v14 op_sel_hi:[1,0,1]
	v_pk_add_f16 v61, v52, v62
	v_pk_fma_f16 v62, v63, s19, v14 op_sel_hi:[1,0,1]
	v_and_b32_e32 v63, 0xf000f, v3
	v_and_b32_e32 v64, 0xf000f0, v3
	v_lshrrev_b32_e32 v3, 8, v3
	v_and_b32_e32 v65, 0xf000f, v3
	v_or_b32_e32 v64, 0x64006400, v64
	v_or_b32_e32 v65, 0x64006400, v65
	v_pk_fma_f16 v68, v64, s19, v13 op_sel_hi:[1,0,1]
	v_pk_add_f16 v69, v54, v65
	ds_read2_b32 v[64:65], v55 offset0:8 offset1:9
	v_or_b32_e32 v27, 0x64006400, v27
	v_pk_fma_f16 v27, v27, s19, v12 op_sel_hi:[1,0,1]
	v_or_b32_e32 v63, 0x64006400, v63
	v_pk_add_f16 v63, v54, v63
	s_waitcnt lgkmcnt(0)
	v_pk_fma_f16 v66, v56, v64, 0
	v_and_b32_e32 v3, 0xf000f0, v3
	v_pk_fma_f16 v70, v27, v65, v66
	ds_read2_b32 v[66:67], v55 offset0:10 offset1:11
	v_or_b32_e32 v3, 0x64006400, v3
	v_pk_fma_f16 v3, v3, s19, v13 op_sel_hi:[1,0,1]
	s_waitcnt lgkmcnt(0)
	v_pk_fma_f16 v70, v0, v66, v70
	s_nop 0
	v_pk_fma_f16 v70, v26, v67, v70
	s_nop 0
	v_cvt_f32_f16_e32 v71, v70
	v_cvt_f32_f16_sdwa v70, v70 dst_sel:DWORD dst_unused:UNUSED_PAD src0_sel:WORD_1
	v_add_f32_e32 v70, v70, v71
	v_fmac_f32_e32 v44, v70, v49
	v_pk_fma_f16 v70, v1, v64, 0
	s_nop 0
	v_pk_fma_f16 v70, v57, v65, v70
	s_nop 0
	v_pk_fma_f16 v70, v58, v66, v70
	s_nop 0
	v_pk_fma_f16 v70, v59, v67, v70
	s_nop 0
	v_cvt_f32_f16_e32 v71, v70
	v_cvt_f32_f16_sdwa v70, v70 dst_sel:DWORD dst_unused:UNUSED_PAD src0_sel:WORD_1
	v_add_f32_e32 v70, v70, v71
	v_fmac_f32_e32 v45, v70, v50
	v_pk_fma_f16 v70, v2, v64, 0
	v_pk_fma_f16 v64, v63, v64, 0
	v_pk_fma_f16 v70, v60, v65, v70
	v_pk_fma_f16 v64, v68, v65, v64
	v_pk_fma_f16 v70, v61, v66, v70
	v_pk_fma_f16 v64, v69, v66, v64
	v_pk_fma_f16 v70, v62, v67, v70
	v_pk_fma_f16 v64, v3, v67, v64
	v_cvt_f32_f16_e32 v71, v70
	v_cvt_f32_f16_e32 v65, v64
	v_cvt_f32_f16_sdwa v64, v64 dst_sel:DWORD dst_unused:UNUSED_PAD src0_sel:WORD_1
	v_cvt_f32_f16_sdwa v70, v70 dst_sel:DWORD dst_unused:UNUSED_PAD src0_sel:WORD_1
	v_add_f32_e32 v64, v64, v65
	v_fmac_f32_e32 v43, v64, v11
	ds_read2_b32 v[64:65], v55 offset0:72 offset1:73
	v_add_f32_e32 v70, v70, v71
	v_fmac_f32_e32 v42, v70, v10
	s_waitcnt lgkmcnt(0)
	v_pk_fma_f16 v66, v56, v64, 0
	s_nop 0
	v_pk_fma_f16 v70, v27, v65, v66
	ds_read2_b32 v[66:67], v55 offset0:74 offset1:75
	s_waitcnt lgkmcnt(0)
	v_pk_fma_f16 v70, v0, v66, v70
	s_nop 0
	v_pk_fma_f16 v70, v26, v67, v70
	s_nop 0
	v_cvt_f32_f16_e32 v71, v70
	v_cvt_f32_f16_sdwa v70, v70 dst_sel:DWORD dst_unused:UNUSED_PAD src0_sel:WORD_1
	v_add_f32_e32 v70, v70, v71
	v_fmac_f32_e32 v40, v70, v49
	v_pk_fma_f16 v70, v1, v64, 0
	s_nop 0
	v_pk_fma_f16 v70, v57, v65, v70
	s_nop 0
	v_pk_fma_f16 v70, v58, v66, v70
	s_nop 0
	v_pk_fma_f16 v70, v59, v67, v70
	s_nop 0
	v_cvt_f32_f16_e32 v71, v70
	v_cvt_f32_f16_sdwa v70, v70 dst_sel:DWORD dst_unused:UNUSED_PAD src0_sel:WORD_1
	v_add_f32_e32 v70, v70, v71
	v_fmac_f32_e32 v41, v70, v50
	v_pk_fma_f16 v70, v2, v64, 0
	v_pk_fma_f16 v64, v63, v64, 0
	v_pk_fma_f16 v70, v60, v65, v70
	v_pk_fma_f16 v64, v68, v65, v64
	v_pk_fma_f16 v70, v61, v66, v70
	v_pk_fma_f16 v64, v69, v66, v64
	v_pk_fma_f16 v70, v62, v67, v70
	v_pk_fma_f16 v64, v3, v67, v64
	v_cvt_f32_f16_e32 v71, v70
	v_cvt_f32_f16_e32 v65, v64
	v_cvt_f32_f16_sdwa v64, v64 dst_sel:DWORD dst_unused:UNUSED_PAD src0_sel:WORD_1
	v_cvt_f32_f16_sdwa v70, v70 dst_sel:DWORD dst_unused:UNUSED_PAD src0_sel:WORD_1
	v_add_f32_e32 v64, v64, v65
	v_fmac_f32_e32 v39, v64, v11
	ds_read2_b32 v[64:65], v55 offset0:136 offset1:137
	v_add_f32_e32 v70, v70, v71
	v_fmac_f32_e32 v38, v70, v10
	s_waitcnt lgkmcnt(0)
	v_pk_fma_f16 v66, v56, v64, 0
	s_nop 0
	v_pk_fma_f16 v70, v27, v65, v66
	ds_read2_b32 v[66:67], v55 offset0:138 offset1:139
	;; [unrolled: 43-line block ×3, first 2 shown]
	s_waitcnt lgkmcnt(0)
	v_pk_fma_f16 v70, v0, v66, v70
	s_nop 0
	v_pk_fma_f16 v70, v26, v67, v70
	s_nop 0
	v_cvt_f32_f16_e32 v71, v70
	v_cvt_f32_f16_sdwa v70, v70 dst_sel:DWORD dst_unused:UNUSED_PAD src0_sel:WORD_1
	v_add_f32_e32 v70, v70, v71
	v_fmac_f32_e32 v31, v70, v49
	v_pk_fma_f16 v70, v1, v64, 0
	s_nop 0
	v_pk_fma_f16 v70, v57, v65, v70
	s_nop 0
	v_pk_fma_f16 v70, v58, v66, v70
	s_nop 0
	v_pk_fma_f16 v70, v59, v67, v70
	s_nop 0
	v_cvt_f32_f16_e32 v71, v70
	v_cvt_f32_f16_sdwa v70, v70 dst_sel:DWORD dst_unused:UNUSED_PAD src0_sel:WORD_1
	v_add_f32_e32 v70, v70, v71
	v_fmac_f32_e32 v32, v70, v50
	v_pk_fma_f16 v70, v2, v64, 0
	v_pk_fma_f16 v64, v63, v64, 0
	;; [unrolled: 1-line block ×8, first 2 shown]
	v_cvt_f32_f16_e32 v71, v70
	v_cvt_f32_f16_e32 v65, v64
	v_cvt_f32_f16_sdwa v64, v64 dst_sel:DWORD dst_unused:UNUSED_PAD src0_sel:WORD_1
	v_cvt_f32_f16_sdwa v70, v70 dst_sel:DWORD dst_unused:UNUSED_PAD src0_sel:WORD_1
	v_add_f32_e32 v64, v64, v65
	v_fmac_f32_e32 v28, v64, v11
	v_mov_b32_e32 v64, s9
	ds_read2_b32 v[64:65], v64 offset1:1
	s_add_i32 s9, s6, 0x428
	v_add_f32_e32 v70, v70, v71
	v_fmac_f32_e32 v29, v70, v10
	s_waitcnt lgkmcnt(0)
	v_pk_fma_f16 v56, v56, v64, 0
	s_nop 0
	v_pk_fma_f16 v27, v27, v65, v56
	v_mov_b32_e32 v56, s9
	ds_read2_b32 v[66:67], v56 offset1:1
	s_add_i32 s9, s6, 0x430
	s_waitcnt lgkmcnt(0)
	v_pk_fma_f16 v0, v0, v66, v27
	s_nop 0
	v_pk_fma_f16 v0, v26, v67, v0
	s_nop 0
	v_cvt_f32_f16_e32 v26, v0
	v_cvt_f32_f16_sdwa v0, v0 dst_sel:DWORD dst_unused:UNUSED_PAD src0_sel:WORD_1
	v_add_f32_e32 v0, v0, v26
	global_load_dwordx4 v[24:27], v[24:25], off
	v_fmac_f32_e32 v15, v0, v49
	v_pk_fma_f16 v0, v1, v64, 0
	s_waitcnt vmcnt(0)
	v_and_b32_e32 v56, 0xf000f, v24
	v_pk_fma_f16 v0, v57, v65, v0
	v_and_b32_e32 v57, 0xf000f0, v24
	v_pk_fma_f16 v0, v58, v66, v0
	v_lshrrev_b32_e32 v24, 8, v24
	v_pk_fma_f16 v0, v59, v67, v0
	v_and_b32_e32 v58, 0xf000f, v24
	v_cvt_f32_f16_e32 v1, v0
	v_cvt_f32_f16_sdwa v0, v0 dst_sel:DWORD dst_unused:UNUSED_PAD src0_sel:WORD_1
	v_and_b32_e32 v24, 0xf000f0, v24
	v_or_b32_e32 v56, 0x64006400, v56
	v_or_b32_e32 v57, 0x64006400, v57
	;; [unrolled: 1-line block ×4, first 2 shown]
	v_add_f32_e32 v0, v0, v1
	v_pk_add_f16 v71, v51, v56
	v_pk_fma_f16 v70, v57, s19, v12 op_sel_hi:[1,0,1]
	v_pk_add_f16 v56, v51, v58
	v_pk_fma_f16 v57, v24, s19, v12 op_sel_hi:[1,0,1]
	v_and_b32_e32 v24, 0xf000f, v25
	v_and_b32_e32 v58, 0xf000f0, v25
	v_lshrrev_b32_e32 v25, 8, v25
	v_fmac_f32_e32 v30, v0, v50
	v_pk_fma_f16 v0, v2, v64, 0
	v_or_b32_e32 v59, 0x64006400, v58
	v_and_b32_e32 v58, 0xf000f, v25
	v_and_b32_e32 v25, 0xf000f0, v25
	v_pk_fma_f16 v0, v60, v65, v0
	v_or_b32_e32 v24, 0x64006400, v24
	v_or_b32_e32 v25, 0x64006400, v25
	v_pk_fma_f16 v0, v61, v66, v0
	v_or_b32_e32 v60, 0x64006400, v58
	v_pk_add_f16 v58, v53, v24
	v_pk_fma_f16 v61, v25, s19, v7 op_sel_hi:[1,0,1]
	v_and_b32_e32 v24, 0xf000f, v26
	v_and_b32_e32 v25, 0xf000f0, v26
	v_lshrrev_b32_e32 v26, 8, v26
	v_pk_fma_f16 v1, v62, v67, v0
	v_or_b32_e32 v24, 0x64006400, v24
	v_or_b32_e32 v25, 0x64006400, v25
	v_and_b32_e32 v62, 0xf000f, v26
	v_cvt_f32_f16_e32 v0, v1
	v_cvt_f32_f16_sdwa v2, v1 dst_sel:DWORD dst_unused:UNUSED_PAD src0_sel:WORD_1
	v_pk_fma_f16 v1, v63, v64, 0
	v_or_b32_e32 v64, 0x64006400, v62
	v_pk_add_f16 v62, v52, v24
	v_pk_fma_f16 v63, v25, s19, v14 op_sel_hi:[1,0,1]
	v_and_b32_e32 v24, 0xf000f, v27
	v_and_b32_e32 v25, 0xf000f0, v27
	v_pk_fma_f16 v1, v68, v65, v1
	v_or_b32_e32 v24, 0x64006400, v24
	v_or_b32_e32 v25, 0x64006400, v25
	v_pk_fma_f16 v1, v69, v66, v1
	v_and_b32_e32 v26, 0xf000f0, v26
	v_pk_add_f16 v68, v54, v24
	v_pk_fma_f16 v69, v25, s19, v13 op_sel_hi:[1,0,1]
	ds_read2_b32 v[24:25], v55 offset0:12 offset1:13
	v_or_b32_e32 v26, 0x64006400, v26
	v_pk_fma_f16 v65, v26, s19, v14 op_sel_hi:[1,0,1]
	v_lshrrev_b32_e32 v26, 8, v27
	v_and_b32_e32 v27, 0xf000f, v26
	v_and_b32_e32 v26, 0xf000f0, v26
	v_or_b32_e32 v26, 0x64006400, v26
	v_pk_fma_f16 v1, v3, v67, v1
	v_or_b32_e32 v27, 0x64006400, v27
	v_pk_fma_f16 v67, v26, s19, v13 op_sel_hi:[1,0,1]
	s_waitcnt lgkmcnt(0)
	v_pk_fma_f16 v26, v71, v24, 0
	v_pk_add_f16 v66, v54, v27
	v_pk_fma_f16 v72, v70, v25, v26
	ds_read2_b32 v[26:27], v55 offset0:14 offset1:15
	v_pk_fma_f16 v59, v59, s19, v7 op_sel_hi:[1,0,1]
	v_pk_add_f16 v60, v53, v60
	v_pk_add_f16 v64, v52, v64
	v_cvt_f32_f16_sdwa v3, v1 dst_sel:DWORD dst_unused:UNUSED_PAD src0_sel:WORD_1
	s_waitcnt lgkmcnt(0)
	v_pk_fma_f16 v72, v56, v26, v72
	v_cvt_f32_f16_e32 v1, v1
	v_pk_fma_f16 v72, v57, v27, v72
	v_pk_add_f32 v[0:1], v[0:1], v[2:3]
	v_cvt_f32_f16_e32 v73, v72
	v_cvt_f32_f16_sdwa v72, v72 dst_sel:DWORD dst_unused:UNUSED_PAD src0_sel:WORD_1
	v_pk_fma_f32 v[0:1], v[0:1], v[10:11], v[4:5]
	v_add_f32_e32 v72, v72, v73
	v_fmac_f32_e32 v44, v72, v49
	v_pk_fma_f16 v72, v58, v24, 0
	s_nop 0
	v_pk_fma_f16 v72, v59, v25, v72
	s_nop 0
	;; [unrolled: 2-line block ×4, first 2 shown]
	v_cvt_f32_f16_e32 v73, v72
	v_cvt_f32_f16_sdwa v72, v72 dst_sel:DWORD dst_unused:UNUSED_PAD src0_sel:WORD_1
	v_add_f32_e32 v72, v72, v73
	v_fmac_f32_e32 v45, v72, v50
	v_pk_fma_f16 v72, v62, v24, 0
	v_pk_fma_f16 v24, v68, v24, 0
	;; [unrolled: 1-line block ×8, first 2 shown]
	v_cvt_f32_f16_e32 v73, v72
	v_cvt_f32_f16_e32 v25, v24
	v_cvt_f32_f16_sdwa v24, v24 dst_sel:DWORD dst_unused:UNUSED_PAD src0_sel:WORD_1
	v_cvt_f32_f16_sdwa v72, v72 dst_sel:DWORD dst_unused:UNUSED_PAD src0_sel:WORD_1
	v_add_f32_e32 v24, v24, v25
	v_fmac_f32_e32 v43, v24, v11
	ds_read2_b32 v[24:25], v55 offset0:76 offset1:77
	v_add_f32_e32 v72, v72, v73
	v_fmac_f32_e32 v42, v72, v10
	s_waitcnt lgkmcnt(0)
	v_pk_fma_f16 v26, v71, v24, 0
	s_nop 0
	v_pk_fma_f16 v72, v70, v25, v26
	ds_read2_b32 v[26:27], v55 offset0:78 offset1:79
	s_waitcnt lgkmcnt(0)
	v_pk_fma_f16 v72, v56, v26, v72
	s_nop 0
	v_pk_fma_f16 v72, v57, v27, v72
	s_nop 0
	v_cvt_f32_f16_e32 v73, v72
	v_cvt_f32_f16_sdwa v72, v72 dst_sel:DWORD dst_unused:UNUSED_PAD src0_sel:WORD_1
	v_add_f32_e32 v72, v72, v73
	v_fmac_f32_e32 v40, v72, v49
	v_pk_fma_f16 v72, v58, v24, 0
	s_nop 0
	v_pk_fma_f16 v72, v59, v25, v72
	s_nop 0
	;; [unrolled: 2-line block ×4, first 2 shown]
	v_cvt_f32_f16_e32 v73, v72
	v_cvt_f32_f16_sdwa v72, v72 dst_sel:DWORD dst_unused:UNUSED_PAD src0_sel:WORD_1
	v_add_f32_e32 v72, v72, v73
	v_fmac_f32_e32 v41, v72, v50
	v_pk_fma_f16 v72, v62, v24, 0
	v_pk_fma_f16 v24, v68, v24, 0
	;; [unrolled: 1-line block ×8, first 2 shown]
	v_cvt_f32_f16_e32 v73, v72
	v_cvt_f32_f16_e32 v25, v24
	v_cvt_f32_f16_sdwa v24, v24 dst_sel:DWORD dst_unused:UNUSED_PAD src0_sel:WORD_1
	v_cvt_f32_f16_sdwa v72, v72 dst_sel:DWORD dst_unused:UNUSED_PAD src0_sel:WORD_1
	v_add_f32_e32 v24, v24, v25
	v_fmac_f32_e32 v39, v24, v11
	ds_read2_b32 v[24:25], v55 offset0:140 offset1:141
	v_add_f32_e32 v72, v72, v73
	v_fmac_f32_e32 v38, v72, v10
	s_waitcnt lgkmcnt(0)
	v_pk_fma_f16 v26, v71, v24, 0
	s_nop 0
	v_pk_fma_f16 v72, v70, v25, v26
	ds_read2_b32 v[26:27], v55 offset0:142 offset1:143
	s_waitcnt lgkmcnt(0)
	v_pk_fma_f16 v72, v56, v26, v72
	s_nop 0
	v_pk_fma_f16 v72, v57, v27, v72
	s_nop 0
	v_cvt_f32_f16_e32 v73, v72
	v_cvt_f32_f16_sdwa v72, v72 dst_sel:DWORD dst_unused:UNUSED_PAD src0_sel:WORD_1
	v_add_f32_e32 v72, v72, v73
	v_fmac_f32_e32 v35, v72, v49
	v_pk_fma_f16 v72, v58, v24, 0
	s_nop 0
	v_pk_fma_f16 v72, v59, v25, v72
	s_nop 0
	v_pk_fma_f16 v72, v60, v26, v72
	s_nop 0
	v_pk_fma_f16 v72, v61, v27, v72
	s_nop 0
	v_cvt_f32_f16_e32 v73, v72
	v_cvt_f32_f16_sdwa v72, v72 dst_sel:DWORD dst_unused:UNUSED_PAD src0_sel:WORD_1
	v_add_f32_e32 v72, v72, v73
	v_fmac_f32_e32 v36, v72, v50
	v_pk_fma_f16 v72, v62, v24, 0
	v_pk_fma_f16 v24, v68, v24, 0
	;; [unrolled: 1-line block ×8, first 2 shown]
	ds_read2_b32 v[26:27], v55 offset0:204 offset1:205
	v_cvt_f32_f16_e32 v25, v24
	v_cvt_f32_f16_sdwa v24, v24 dst_sel:DWORD dst_unused:UNUSED_PAD src0_sel:WORD_1
	v_cvt_f32_f16_e32 v73, v72
	v_cvt_f32_f16_sdwa v72, v72 dst_sel:DWORD dst_unused:UNUSED_PAD src0_sel:WORD_1
	v_add_f32_e32 v24, v24, v25
	v_fmac_f32_e32 v34, v24, v11
	v_add_f32_e32 v72, v72, v73
	s_waitcnt lgkmcnt(0)
	v_pk_fma_f16 v24, v71, v26, 0
	v_fmac_f32_e32 v33, v72, v10
	v_pk_fma_f16 v72, v70, v27, v24
	ds_read2_b32 v[24:25], v55 offset0:206 offset1:207
	s_waitcnt lgkmcnt(0)
	v_pk_fma_f16 v55, v56, v24, v72
	s_nop 0
	v_pk_fma_f16 v55, v57, v25, v55
	s_nop 0
	v_cvt_f32_f16_e32 v72, v55
	v_cvt_f32_f16_sdwa v55, v55 dst_sel:DWORD dst_unused:UNUSED_PAD src0_sel:WORD_1
	v_add_f32_e32 v55, v55, v72
	v_fmac_f32_e32 v31, v55, v49
	v_pk_fma_f16 v55, v58, v26, 0
	s_nop 0
	v_pk_fma_f16 v55, v59, v27, v55
	s_nop 0
	;; [unrolled: 2-line block ×4, first 2 shown]
	v_cvt_f32_f16_e32 v72, v55
	v_cvt_f32_f16_sdwa v55, v55 dst_sel:DWORD dst_unused:UNUSED_PAD src0_sel:WORD_1
	v_add_f32_e32 v55, v55, v72
	v_fmac_f32_e32 v32, v55, v50
	v_pk_fma_f16 v55, v62, v26, 0
	v_pk_fma_f16 v26, v68, v26, 0
	;; [unrolled: 1-line block ×8, first 2 shown]
	v_cvt_f32_f16_e32 v72, v55
	v_cvt_f32_f16_e32 v25, v24
	v_cvt_f32_f16_sdwa v24, v24 dst_sel:DWORD dst_unused:UNUSED_PAD src0_sel:WORD_1
	v_cvt_f32_f16_sdwa v55, v55 dst_sel:DWORD dst_unused:UNUSED_PAD src0_sel:WORD_1
	v_add_f32_e32 v24, v24, v25
	v_fmac_f32_e32 v28, v24, v11
	v_mov_b32_e32 v24, s9
	ds_read2_b32 v[24:25], v24 offset1:1
	v_add_f32_e32 v55, v55, v72
	s_add_i32 s9, s6, 0x438
	v_fmac_f32_e32 v29, v55, v10
	s_add_i32 s6, s6, 64
	s_waitcnt lgkmcnt(0)
	v_pk_fma_f16 v26, v71, v24, 0
	s_cmp_ge_i32 s25, s26
	v_pk_fma_f16 v55, v70, v25, v26
	v_mov_b32_e32 v26, s9
	ds_read2_b32 v[26:27], v26 offset1:1
	s_waitcnt lgkmcnt(0)
	v_pk_fma_f16 v55, v56, v26, v55
	s_nop 0
	v_pk_fma_f16 v55, v57, v27, v55
	s_nop 0
	v_cvt_f32_f16_e32 v56, v55
	v_cvt_f32_f16_sdwa v55, v55 dst_sel:DWORD dst_unused:UNUSED_PAD src0_sel:WORD_1
	v_add_f32_e32 v55, v55, v56
	v_fmac_f32_e32 v15, v55, v49
	v_pk_fma_f16 v55, v58, v24, 0
	s_nop 0
	v_pk_fma_f16 v55, v59, v25, v55
	s_nop 0
	;; [unrolled: 2-line block ×4, first 2 shown]
	v_cvt_f32_f16_e32 v56, v55
	v_cvt_f32_f16_sdwa v55, v55 dst_sel:DWORD dst_unused:UNUSED_PAD src0_sel:WORD_1
	v_add_f32_e32 v55, v55, v56
	v_fmac_f32_e32 v30, v55, v50
	v_pk_fma_f16 v55, v62, v24, 0
	v_pk_fma_f16 v24, v68, v24, 0
	;; [unrolled: 1-line block ×8, first 2 shown]
	v_cvt_f32_f16_e32 v56, v55
	v_cvt_f32_f16_sdwa v58, v55 dst_sel:DWORD dst_unused:UNUSED_PAD src0_sel:WORD_1
	v_cvt_f32_f16_sdwa v59, v24 dst_sel:DWORD dst_unused:UNUSED_PAD src0_sel:WORD_1
	v_cvt_f32_f16_e32 v57, v24
	v_pk_add_f32 v[2:3], v[56:57], v[58:59]
	s_nop 0
	v_pk_fma_f32 v[4:5], v[2:3], v[10:11], v[0:1]
	s_cbranch_scc1 .LBB33_18
.LBB33_16:                              ; =>This Inner Loop Header: Depth=1
	s_cmp_lg_u32 s25, s8
	s_cbranch_scc1 .LBB33_15
; %bb.17:                               ;   in Loop: Header=BB33_16 Depth=1
	s_add_i32 s5, s5, 1
	s_mul_i32 s9, s5, s16
	s_ashr_i32 s17, s9, 31
	s_lshr_b32 s17, s17, 29
	s_add_i32 s17, s9, s17
	s_ashr_i32 s17, s17, 3
	v_add_u32_e32 v0, s9, v6
	v_add_u32_e32 v2, s17, v37
	v_ashrrev_i32_e32 v1, 31, v0
	v_ashrrev_i32_e32 v3, 31, v2
	v_lshl_add_u64 v[0:1], v[0:1], 1, s[12:13]
	v_lshl_add_u64 v[2:3], v[2:3], 2, s[10:11]
	global_load_dwordx2 v[0:1], v[0:1], off
	s_add_i32 s8, s8, s4
	global_load_dword v2, v[2:3], off
	s_waitcnt vmcnt(1)
	v_cvt_f32_f16_e32 v49, v0
	v_cvt_f32_f16_sdwa v50, v0 dst_sel:DWORD dst_unused:UNUSED_PAD src0_sel:WORD_1
	s_waitcnt vmcnt(0)
	v_lshrrev_b32_e32 v0, v47, v2
	v_cvt_f32_f16_e32 v10, v1
	v_cvt_f32_f16_sdwa v11, v1 dst_sel:DWORD dst_unused:UNUSED_PAD src0_sel:WORD_1
	v_lshrrev_b32_e32 v1, 4, v0
	v_and_b32_e32 v2, 15, v0
	v_lshrrev_b32_e32 v3, 12, v0
	v_lshrrev_b32_e32 v0, 8, v0
	v_and_b32_e32 v1, 15, v1
	v_and_b32_e32 v3, 15, v3
	;; [unrolled: 1-line block ×3, first 2 shown]
	v_add_u32_e32 v2, v2, v48
	v_add_u32_e32 v1, v1, v48
	;; [unrolled: 1-line block ×4, first 2 shown]
	v_mad_u32_u24 v51, v2, s18, v46
	v_cvt_f32_ubyte0_e32 v2, v2
	v_cvt_f32_ubyte0_e32 v7, v1
	v_mad_u32_u24 v53, v1, s18, v46
	v_mad_u32_u24 v52, v0, s18, v46
	v_cvt_f32_ubyte0_e32 v1, v3
	v_cvt_f32_ubyte0_e32 v0, v0
	v_cvt_pk_f16_f32 v2, v2, v7
	v_cvt_pk_f16_f32 v0, v0, v1
	v_pk_add_f16 v1, v2, s7 op_sel_hi:[1,0] neg_lo:[1,0] neg_hi:[1,0]
	v_pk_add_f16 v0, v0, s7 op_sel_hi:[1,0] neg_lo:[1,0] neg_hi:[1,0]
	v_mad_u32_u24 v54, v3, s18, v46
	v_mul_u32_u24_sdwa v12, v1, s18 dst_sel:DWORD dst_unused:UNUSED_PAD src0_sel:WORD_0 src1_sel:DWORD
	v_mul_u32_u24_sdwa v7, v1, s18 dst_sel:DWORD dst_unused:UNUSED_PAD src0_sel:WORD_1 src1_sel:DWORD
	v_mul_u32_u24_sdwa v14, v0, s18 dst_sel:DWORD dst_unused:UNUSED_PAD src0_sel:WORD_0 src1_sel:DWORD
	v_mul_u32_u24_sdwa v13, v0, s18 dst_sel:DWORD dst_unused:UNUSED_PAD src0_sel:WORD_1 src1_sel:DWORD
	s_branch .LBB33_15
.LBB33_18:
	s_mul_i32 s24, s24, s16
	v_add_u32_e32 v0, s24, v6
	v_ashrrev_i32_e32 v1, 31, v0
	v_lshl_add_u64 v[2:3], v[0:1], 1, s[14:15]
	global_load_dword v7, v[2:3], off
	v_cvt_pk_f16_f32 v1, v44, v45
	s_mov_b64 s[0:1], 0
.LBB33_19:                              ; =>This Inner Loop Header: Depth=1
	s_waitcnt vmcnt(0)
	v_pk_add_f16 v6, v1, v7
	global_atomic_cmpswap v6, v[2:3], v[6:7], off sc0
	s_waitcnt vmcnt(0)
	v_cmp_eq_u32_e32 vcc, v7, v6
	s_or_b64 s[0:1], vcc, s[0:1]
	v_mov_b32_e32 v7, v6
	s_andn2_b64 exec, exec, s[0:1]
	s_cbranch_execnz .LBB33_19
; %bb.20:
	s_or_b64 exec, exec, s[0:1]
	global_load_dword v7, v[2:3], off offset:4
	v_cvt_pk_f16_f32 v1, v42, v43
	s_mov_b64 s[0:1], 0
.LBB33_21:                              ; =>This Inner Loop Header: Depth=1
	s_waitcnt vmcnt(0)
	v_pk_add_f16 v6, v1, v7
	global_atomic_cmpswap v6, v[2:3], v[6:7], off offset:4 sc0
	s_waitcnt vmcnt(0)
	v_cmp_eq_u32_e32 vcc, v7, v6
	s_or_b64 s[0:1], vcc, s[0:1]
	v_mov_b32_e32 v7, v6
	s_andn2_b64 exec, exec, s[0:1]
	s_cbranch_execnz .LBB33_21
; %bb.22:
	s_or_b64 exec, exec, s[0:1]
	v_add_u32_e32 v0, s16, v0
	v_ashrrev_i32_e32 v1, 31, v0
	v_lshl_add_u64 v[2:3], v[0:1], 1, s[14:15]
	global_load_dword v7, v[2:3], off
	v_cvt_pk_f16_f32 v1, v40, v41
	s_mov_b64 s[0:1], 0
.LBB33_23:                              ; =>This Inner Loop Header: Depth=1
	s_waitcnt vmcnt(0)
	v_pk_add_f16 v6, v1, v7
	global_atomic_cmpswap v6, v[2:3], v[6:7], off sc0
	s_waitcnt vmcnt(0)
	v_cmp_eq_u32_e32 vcc, v7, v6
	s_or_b64 s[0:1], vcc, s[0:1]
	v_mov_b32_e32 v7, v6
	s_andn2_b64 exec, exec, s[0:1]
	s_cbranch_execnz .LBB33_23
; %bb.24:
	s_or_b64 exec, exec, s[0:1]
	global_load_dword v7, v[2:3], off offset:4
	v_cvt_pk_f16_f32 v1, v38, v39
	s_mov_b64 s[0:1], 0
.LBB33_25:                              ; =>This Inner Loop Header: Depth=1
	s_waitcnt vmcnt(0)
	v_pk_add_f16 v6, v1, v7
	global_atomic_cmpswap v6, v[2:3], v[6:7], off offset:4 sc0
	s_waitcnt vmcnt(0)
	v_cmp_eq_u32_e32 vcc, v7, v6
	s_or_b64 s[0:1], vcc, s[0:1]
	v_mov_b32_e32 v7, v6
	s_andn2_b64 exec, exec, s[0:1]
	s_cbranch_execnz .LBB33_25
; %bb.26:
	s_or_b64 exec, exec, s[0:1]
	;; [unrolled: 33-line block ×4, first 2 shown]
	v_add_u32_e32 v0, s16, v0
	v_ashrrev_i32_e32 v1, 31, v0
	v_lshl_add_u64 v[0:1], v[0:1], 1, s[14:15]
	global_load_dword v3, v[0:1], off
	v_cvt_pk_f16_f32 v6, v15, v30
	s_mov_b64 s[0:1], 0
.LBB33_35:                              ; =>This Inner Loop Header: Depth=1
	s_waitcnt vmcnt(0)
	v_pk_add_f16 v2, v6, v3
	global_atomic_cmpswap v2, v[0:1], v[2:3], off sc0
	s_waitcnt vmcnt(0)
	v_cmp_eq_u32_e32 vcc, v3, v2
	s_or_b64 s[0:1], vcc, s[0:1]
	v_mov_b32_e32 v3, v2
	s_andn2_b64 exec, exec, s[0:1]
	s_cbranch_execnz .LBB33_35
; %bb.36:
	s_or_b64 exec, exec, s[0:1]
	global_load_dword v3, v[0:1], off offset:4
	v_cvt_pk_f16_f32 v4, v4, v5
	s_mov_b64 s[0:1], 0
.LBB33_37:                              ; =>This Inner Loop Header: Depth=1
	s_waitcnt vmcnt(0)
	v_pk_add_f16 v2, v4, v3
	global_atomic_cmpswap v2, v[0:1], v[2:3], off offset:4 sc0
	s_waitcnt vmcnt(0)
	v_cmp_eq_u32_e32 vcc, v3, v2
	s_or_b64 s[0:1], vcc, s[0:1]
	v_mov_b32_e32 v3, v2
	s_andn2_b64 exec, exec, s[0:1]
	s_cbranch_execnz .LBB33_37
.LBB33_38:
	s_endpgm
	.section	.rodata,"a",@progbits
	.p2align	6, 0x0
	.amdhsa_kernel _ZN4vllm4gptq33gemm_half_q_half_gptq_4bit_kernelILb1ELi5EEEvPK6__halfPKjS6_S4_PS2_iiiibPKi
		.amdhsa_group_segment_fixed_size 1280
		.amdhsa_private_segment_fixed_size 0
		.amdhsa_kernarg_size 72
		.amdhsa_user_sgpr_count 2
		.amdhsa_user_sgpr_dispatch_ptr 0
		.amdhsa_user_sgpr_queue_ptr 0
		.amdhsa_user_sgpr_kernarg_segment_ptr 1
		.amdhsa_user_sgpr_dispatch_id 0
		.amdhsa_user_sgpr_kernarg_preload_length 0
		.amdhsa_user_sgpr_kernarg_preload_offset 0
		.amdhsa_user_sgpr_private_segment_size 0
		.amdhsa_uses_dynamic_stack 0
		.amdhsa_enable_private_segment 0
		.amdhsa_system_sgpr_workgroup_id_x 1
		.amdhsa_system_sgpr_workgroup_id_y 1
		.amdhsa_system_sgpr_workgroup_id_z 1
		.amdhsa_system_sgpr_workgroup_info 0
		.amdhsa_system_vgpr_workitem_id 0
		.amdhsa_next_free_vgpr 74
		.amdhsa_next_free_sgpr 27
		.amdhsa_accum_offset 76
		.amdhsa_reserve_vcc 1
		.amdhsa_float_round_mode_32 0
		.amdhsa_float_round_mode_16_64 0
		.amdhsa_float_denorm_mode_32 3
		.amdhsa_float_denorm_mode_16_64 3
		.amdhsa_dx10_clamp 1
		.amdhsa_ieee_mode 1
		.amdhsa_fp16_overflow 0
		.amdhsa_tg_split 0
		.amdhsa_exception_fp_ieee_invalid_op 0
		.amdhsa_exception_fp_denorm_src 0
		.amdhsa_exception_fp_ieee_div_zero 0
		.amdhsa_exception_fp_ieee_overflow 0
		.amdhsa_exception_fp_ieee_underflow 0
		.amdhsa_exception_fp_ieee_inexact 0
		.amdhsa_exception_int_div_zero 0
	.end_amdhsa_kernel
	.section	.text._ZN4vllm4gptq33gemm_half_q_half_gptq_4bit_kernelILb1ELi5EEEvPK6__halfPKjS6_S4_PS2_iiiibPKi,"axG",@progbits,_ZN4vllm4gptq33gemm_half_q_half_gptq_4bit_kernelILb1ELi5EEEvPK6__halfPKjS6_S4_PS2_iiiibPKi,comdat
.Lfunc_end33:
	.size	_ZN4vllm4gptq33gemm_half_q_half_gptq_4bit_kernelILb1ELi5EEEvPK6__halfPKjS6_S4_PS2_iiiibPKi, .Lfunc_end33-_ZN4vllm4gptq33gemm_half_q_half_gptq_4bit_kernelILb1ELi5EEEvPK6__halfPKjS6_S4_PS2_iiiibPKi
                                        ; -- End function
	.set _ZN4vllm4gptq33gemm_half_q_half_gptq_4bit_kernelILb1ELi5EEEvPK6__halfPKjS6_S4_PS2_iiiibPKi.num_vgpr, 74
	.set _ZN4vllm4gptq33gemm_half_q_half_gptq_4bit_kernelILb1ELi5EEEvPK6__halfPKjS6_S4_PS2_iiiibPKi.num_agpr, 0
	.set _ZN4vllm4gptq33gemm_half_q_half_gptq_4bit_kernelILb1ELi5EEEvPK6__halfPKjS6_S4_PS2_iiiibPKi.numbered_sgpr, 27
	.set _ZN4vllm4gptq33gemm_half_q_half_gptq_4bit_kernelILb1ELi5EEEvPK6__halfPKjS6_S4_PS2_iiiibPKi.num_named_barrier, 0
	.set _ZN4vllm4gptq33gemm_half_q_half_gptq_4bit_kernelILb1ELi5EEEvPK6__halfPKjS6_S4_PS2_iiiibPKi.private_seg_size, 0
	.set _ZN4vllm4gptq33gemm_half_q_half_gptq_4bit_kernelILb1ELi5EEEvPK6__halfPKjS6_S4_PS2_iiiibPKi.uses_vcc, 1
	.set _ZN4vllm4gptq33gemm_half_q_half_gptq_4bit_kernelILb1ELi5EEEvPK6__halfPKjS6_S4_PS2_iiiibPKi.uses_flat_scratch, 0
	.set _ZN4vllm4gptq33gemm_half_q_half_gptq_4bit_kernelILb1ELi5EEEvPK6__halfPKjS6_S4_PS2_iiiibPKi.has_dyn_sized_stack, 0
	.set _ZN4vllm4gptq33gemm_half_q_half_gptq_4bit_kernelILb1ELi5EEEvPK6__halfPKjS6_S4_PS2_iiiibPKi.has_recursion, 0
	.set _ZN4vllm4gptq33gemm_half_q_half_gptq_4bit_kernelILb1ELi5EEEvPK6__halfPKjS6_S4_PS2_iiiibPKi.has_indirect_call, 0
	.section	.AMDGPU.csdata,"",@progbits
; Kernel info:
; codeLenInByte = 9356
; TotalNumSgprs: 33
; NumVgprs: 74
; NumAgprs: 0
; TotalNumVgprs: 74
; ScratchSize: 0
; MemoryBound: 0
; FloatMode: 240
; IeeeMode: 1
; LDSByteSize: 1280 bytes/workgroup (compile time only)
; SGPRBlocks: 4
; VGPRBlocks: 9
; NumSGPRsForWavesPerEU: 33
; NumVGPRsForWavesPerEU: 74
; AccumOffset: 76
; Occupancy: 6
; WaveLimiterHint : 0
; COMPUTE_PGM_RSRC2:SCRATCH_EN: 0
; COMPUTE_PGM_RSRC2:USER_SGPR: 2
; COMPUTE_PGM_RSRC2:TRAP_HANDLER: 0
; COMPUTE_PGM_RSRC2:TGID_X_EN: 1
; COMPUTE_PGM_RSRC2:TGID_Y_EN: 1
; COMPUTE_PGM_RSRC2:TGID_Z_EN: 1
; COMPUTE_PGM_RSRC2:TIDIG_COMP_CNT: 0
; COMPUTE_PGM_RSRC3_GFX90A:ACCUM_OFFSET: 18
; COMPUTE_PGM_RSRC3_GFX90A:TG_SPLIT: 0
	.section	.text._ZN4vllm4gptq33gemm_half_q_half_gptq_8bit_kernelILb1ELi5EEEvPK6__halfPKjS6_S4_PS2_iiiibPKi,"axG",@progbits,_ZN4vllm4gptq33gemm_half_q_half_gptq_8bit_kernelILb1ELi5EEEvPK6__halfPKjS6_S4_PS2_iiiibPKi,comdat
	.protected	_ZN4vllm4gptq33gemm_half_q_half_gptq_8bit_kernelILb1ELi5EEEvPK6__halfPKjS6_S4_PS2_iiiibPKi ; -- Begin function _ZN4vllm4gptq33gemm_half_q_half_gptq_8bit_kernelILb1ELi5EEEvPK6__halfPKjS6_S4_PS2_iiiibPKi
	.globl	_ZN4vllm4gptq33gemm_half_q_half_gptq_8bit_kernelILb1ELi5EEEvPK6__halfPKjS6_S4_PS2_iiiibPKi
	.p2align	8
	.type	_ZN4vllm4gptq33gemm_half_q_half_gptq_8bit_kernelILb1ELi5EEEvPK6__halfPKjS6_S4_PS2_iiiibPKi,@function
_ZN4vllm4gptq33gemm_half_q_half_gptq_8bit_kernelILb1ELi5EEEvPK6__halfPKjS6_S4_PS2_iiiibPKi: ; @_ZN4vllm4gptq33gemm_half_q_half_gptq_8bit_kernelILb1ELi5EEEvPK6__halfPKjS6_S4_PS2_iiiibPKi
; %bb.0:
	s_load_dwordx8 s[8:15], s[0:1], 0x8
	s_load_dwordx4 s[16:19], s[0:1], 0x2c
	s_lshl_b32 s25, s4, 7
	s_mul_i32 s24, s3, 5
	s_add_i32 s3, s25, 0x80
	v_cvt_f64_u32_e32 v[2:3], s3
	s_waitcnt lgkmcnt(0)
	v_cvt_f64_i32_e32 v[4:5], s17
	v_min_f64 v[2:3], v[2:3], v[4:5]
	v_cvt_i32_f64_e32 v1, v[2:3]
	v_add_u32_e32 v2, s25, v0
	v_readfirstlane_b32 s26, v1
	v_cmp_lt_u32_e32 vcc, v2, v1
	s_and_saveexec_b64 s[4:5], vcc
	s_cbranch_execz .LBB34_12
; %bb.1:
	s_load_dwordx2 s[22:23], s[0:1], 0x40
	s_load_dwordx2 s[6:7], s[0:1], 0x0
	v_mov_b32_e32 v3, 0
	v_mov_b64_e32 v[6:7], v[2:3]
	s_waitcnt lgkmcnt(0)
	s_cmp_lg_u64 s[22:23], 0
	s_cselect_b64 s[20:21], -1, 0
	s_cmp_eq_u64 s[22:23], 0
	v_lshl_add_u64 v[4:5], v[2:3], 2, s[22:23]
	s_cbranch_scc1 .LBB34_3
; %bb.2:
	global_load_dword v6, v[4:5], off
	s_waitcnt vmcnt(0)
	v_ashrrev_i32_e32 v7, 31, v6
.LBB34_3:
	s_mul_i32 s22, s24, s17
	s_ashr_i32 s23, s22, 31
	s_lshl_b64 s[0:1], s[22:23], 1
	s_add_u32 s0, s6, s0
	s_addc_u32 s1, s7, s1
	v_lshl_add_u64 v[6:7], v[6:7], 1, s[0:1]
	global_load_ushort v6, v[6:7], off
	v_lshlrev_b32_e32 v1, 1, v0
	v_cndmask_b32_e64 v7, 0, 1, s[20:21]
	v_cmp_ne_u32_e64 s[0:1], 1, v7
	s_andn2_b64 vcc, exec, s[20:21]
	s_waitcnt vmcnt(0)
	ds_write_b16 v1, v6
	v_mov_b64_e32 v[6:7], v[2:3]
	s_cbranch_vccnz .LBB34_5
; %bb.4:
	global_load_dword v6, v[4:5], off
	s_waitcnt vmcnt(0)
	v_ashrrev_i32_e32 v7, 31, v6
.LBB34_5:
	s_add_i32 s20, s22, s17
	s_ashr_i32 s21, s20, 31
	s_lshl_b64 s[22:23], s[20:21], 1
	s_add_u32 s22, s6, s22
	s_addc_u32 s23, s7, s23
	v_lshl_add_u64 v[6:7], v[6:7], 1, s[22:23]
	global_load_ushort v6, v[6:7], off
	s_and_b64 vcc, exec, s[0:1]
	s_waitcnt vmcnt(0)
	ds_write_b16 v1, v6 offset:256
	v_mov_b64_e32 v[6:7], v[2:3]
	s_cbranch_vccnz .LBB34_7
; %bb.6:
	global_load_dword v6, v[4:5], off
	s_waitcnt vmcnt(0)
	v_ashrrev_i32_e32 v7, 31, v6
.LBB34_7:
	s_add_i32 s20, s20, s17
	s_ashr_i32 s21, s20, 31
	s_lshl_b64 s[22:23], s[20:21], 1
	s_add_u32 s22, s6, s22
	s_addc_u32 s23, s7, s23
	v_lshl_add_u64 v[6:7], v[6:7], 1, s[22:23]
	global_load_ushort v6, v[6:7], off
	s_and_b64 vcc, exec, s[0:1]
	s_waitcnt vmcnt(0)
	ds_write_b16 v1, v6 offset:512
	;; [unrolled: 17-line block ×3, first 2 shown]
	s_cbranch_vccnz .LBB34_11
; %bb.10:
	global_load_dword v2, v[4:5], off
	s_waitcnt vmcnt(0)
	v_ashrrev_i32_e32 v3, 31, v2
.LBB34_11:
	s_add_i32 s0, s20, s17
	s_ashr_i32 s1, s0, 31
	s_lshl_b64 s[0:1], s[0:1], 1
	s_add_u32 s0, s6, s0
	s_addc_u32 s1, s7, s1
	v_lshl_add_u64 v[2:3], v[2:3], 1, s[0:1]
	global_load_ushort v2, v[2:3], off
	s_waitcnt vmcnt(0)
	ds_write_b16 v1, v2 offset:1024
.LBB34_12:
	s_or_b64 exec, exec, s[4:5]
	v_lshlrev_b32_e32 v0, 2, v0
	v_lshl_add_u32 v26, s2, 9, v0
	v_cmp_gt_i32_e32 vcc, s16, v26
	s_and_saveexec_b64 s[0:1], vcc
	s_cbranch_execz .LBB34_38
; %bb.13:
	s_abs_i32 s0, s18
	v_cvt_f32_u32_e32 v0, s0
	s_mov_b32 s4, 0
	v_mov_b32_e32 v73, 0
	v_mov_b32_e32 v25, 0
	v_rcp_iflag_f32_e32 v0, v0
	v_mov_b32_e32 v24, 0
	v_mov_b32_e32 v23, 0
	s_cmp_ge_i32 s25, s26
	v_mul_f32_e32 v0, 0x4f7ffffe, v0
	v_cvt_u32_f32_e32 v0, v0
	v_mov_b32_e32 v22, 0
	v_mov_b32_e32 v21, 0
	;; [unrolled: 1-line block ×3, first 2 shown]
	v_readfirstlane_b32 s1, v0
	v_mov_b32_e32 v44, 0
	v_mov_b32_e32 v46, 0
	v_mov_b32_e32 v45, 0
	s_waitcnt lgkmcnt(0)
	s_barrier
	s_cbranch_scc1 .LBB34_18
; %bb.14:
	s_sub_i32 s6, 0, s0
	s_mul_i32 s6, s6, s1
	s_mul_hi_u32 s6, s1, s6
	s_abs_i32 s5, s17
	s_add_i32 s1, s1, s6
	s_ashr_i32 s2, s17, 31
	s_ashr_i32 s3, s18, 31
	s_mul_hi_u32 s1, s5, s1
	s_xor_b32 s2, s2, s3
	s_mul_i32 s3, s1, s0
	s_sub_i32 s3, s5, s3
	s_add_i32 s5, s1, 1
	s_sub_i32 s6, s3, s0
	s_cmp_ge_u32 s3, s0
	s_cselect_b32 s1, s5, s1
	s_cselect_b32 s3, s6, s3
	s_add_i32 s5, s1, 1
	s_cmp_ge_u32 s3, s0
	s_cselect_b32 s0, s5, s1
	s_xor_b32 s0, s0, s2
	s_sub_i32 s5, s0, s2
	v_cvt_f32_u32_e32 v0, s5
	s_bitcmp1_b32 s19, 0
	s_cselect_b64 s[0:1], -1, 0
	s_sub_i32 s2, 0, s5
	v_rcp_iflag_f32_e32 v0, v0
	s_xor_b64 s[0:1], s[0:1], -1
	v_ashrrev_i32_e32 v34, 2, v26
	v_cndmask_b32_e64 v35, 0, 1, s[0:1]
	v_mul_f32_e32 v0, 0x4f7ffffe, v0
	v_cvt_u32_f32_e32 v0, v0
	v_ashrrev_i32_e32 v27, 31, v26
	v_mov_b32_e32 v45, 0
	v_mov_b32_e32 v46, 0
	v_readfirstlane_b32 s3, v0
	s_mul_i32 s2, s2, s3
	s_mul_hi_u32 s2, s3, s2
	s_add_i32 s3, s3, s2
	s_mul_hi_u32 s2, s25, s3
	s_mul_i32 s3, s2, s5
	s_sub_i32 s3, s25, s3
	s_add_i32 s6, s2, 1
	s_sub_i32 s7, s3, s5
	s_cmp_ge_u32 s3, s5
	s_cselect_b32 s2, s6, s2
	s_cselect_b32 s3, s7, s3
	s_add_i32 s6, s2, 1
	s_cmp_ge_u32 s3, s5
	s_cselect_b32 s6, s6, s2
	s_mul_i32 s2, s6, s16
	s_ashr_i32 s3, s2, 31
	s_lshr_b32 s3, s3, 30
	s_add_i32 s3, s2, s3
	s_ashr_i32 s3, s3, 2
	v_add_u32_e32 v0, s3, v34
	v_ashrrev_i32_e32 v1, 31, v0
	v_lshl_add_u64 v[0:1], v[0:1], 2, s[10:11]
	global_load_dword v2, v[0:1], off
	v_add_u32_e32 v0, s2, v26
	v_ashrrev_i32_e32 v1, 31, v0
	v_lshl_add_u64 v[0:1], v[0:1], 1, s[12:13]
	global_load_dwordx2 v[28:29], v[0:1], off
	s_lshr_b32 s0, s25, 2
	s_mul_i32 s0, s16, s0
	s_ashr_i32 s1, s0, 31
	s_lshl_b64 s[0:1], s[0:1], 2
	s_add_u32 s0, s8, s0
	s_addc_u32 s1, s9, s1
	s_ashr_i32 s17, s16, 31
	v_mov_b32_e32 v44, 0
	v_mov_b32_e32 v20, 0
	;; [unrolled: 1-line block ×7, first 2 shown]
	s_add_i32 s7, s5, s25
	v_lshl_add_u64 v[30:31], v[26:27], 2, s[0:1]
	s_lshl_b64 s[0:1], s[16:17], 5
	s_lshl_b64 s[2:3], s[16:17], 2
	v_mov_b32_e32 v73, 0
	s_waitcnt vmcnt(1)
	v_and_b32_e32 v27, 0xff, v2
	v_bfe_u32 v36, v2, 8, 8
	v_bfe_u32 v37, v2, 16, 8
	v_lshrrev_b32_e32 v38, 24, v2
	s_branch .LBB34_16
.LBB34_15:                              ;   in Loop: Header=BB34_16 Depth=1
	v_lshl_add_u64 v[32:33], v[30:31], 0, s[2:3]
	global_load_dwordx4 v[4:7], v[30:31], off
	global_load_dwordx4 v[0:3], v[32:33], off
	v_add_u32_e32 v41, v36, v35
	v_add_u32_e32 v42, v27, v35
	;; [unrolled: 1-line block ×4, first 2 shown]
	s_add_i32 s25, s25, 32
	v_lshl_add_u64 v[30:31], v[30:31], 0, s[0:1]
	s_waitcnt vmcnt(1)
	v_sub_u32_sdwa v8, v4, v42 dst_sel:DWORD dst_unused:UNUSED_PAD src0_sel:BYTE_0 src1_sel:DWORD
	s_waitcnt vmcnt(0)
	v_sub_u32_sdwa v49, v1, v41 dst_sel:DWORD dst_unused:UNUSED_PAD src0_sel:BYTE_0 src1_sel:DWORD
	v_sub_u32_sdwa v50, v1, v41 dst_sel:DWORD dst_unused:UNUSED_PAD src0_sel:BYTE_1 src1_sel:DWORD
	v_sub_u32_sdwa v51, v1, v41 dst_sel:DWORD dst_unused:UNUSED_PAD src0_sel:BYTE_2 src1_sel:DWORD
	v_sub_u32_sdwa v1, v1, v41 dst_sel:DWORD dst_unused:UNUSED_PAD src0_sel:BYTE_3 src1_sel:DWORD
	v_sub_u32_sdwa v43, v0, v42 dst_sel:DWORD dst_unused:UNUSED_PAD src0_sel:BYTE_0 src1_sel:DWORD
	v_sub_u32_sdwa v47, v0, v42 dst_sel:DWORD dst_unused:UNUSED_PAD src0_sel:BYTE_1 src1_sel:DWORD
	v_sub_u32_sdwa v48, v0, v42 dst_sel:DWORD dst_unused:UNUSED_PAD src0_sel:BYTE_2 src1_sel:DWORD
	v_sub_u32_sdwa v0, v0, v42 dst_sel:DWORD dst_unused:UNUSED_PAD src0_sel:BYTE_3 src1_sel:DWORD
	v_cvt_f32_i32_e32 v1, v1
	v_cvt_f32_i32_e32 v0, v0
	v_sub_u32_sdwa v9, v4, v42 dst_sel:DWORD dst_unused:UNUSED_PAD src0_sel:BYTE_1 src1_sel:DWORD
	v_sub_u32_sdwa v14, v6, v40 dst_sel:DWORD dst_unused:UNUSED_PAD src0_sel:BYTE_0 src1_sel:DWORD
	v_sub_u32_sdwa v15, v6, v40 dst_sel:DWORD dst_unused:UNUSED_PAD src0_sel:BYTE_1 src1_sel:DWORD
	v_sub_u32_sdwa v16, v6, v40 dst_sel:DWORD dst_unused:UNUSED_PAD src0_sel:BYTE_2 src1_sel:DWORD
	v_sub_u32_sdwa v6, v6, v40 dst_sel:DWORD dst_unused:UNUSED_PAD src0_sel:BYTE_3 src1_sel:DWORD
	v_sub_u32_sdwa v17, v7, v39 dst_sel:DWORD dst_unused:UNUSED_PAD src0_sel:BYTE_0 src1_sel:DWORD
	v_sub_u32_sdwa v18, v7, v39 dst_sel:DWORD dst_unused:UNUSED_PAD src0_sel:BYTE_1 src1_sel:DWORD
	v_sub_u32_sdwa v19, v7, v39 dst_sel:DWORD dst_unused:UNUSED_PAD src0_sel:BYTE_2 src1_sel:DWORD
	v_sub_u32_sdwa v7, v7, v39 dst_sel:DWORD dst_unused:UNUSED_PAD src0_sel:BYTE_3 src1_sel:DWORD
	;; [unrolled: 4-line block ×3, first 2 shown]
	v_cvt_f32_i32_e32 v43, v43
	v_cvt_f16_f32_e32 v64, v1
	v_sub_u32_sdwa v1, v3, v39 dst_sel:DWORD dst_unused:UNUSED_PAD src0_sel:BYTE_0 src1_sel:DWORD
	v_cvt_f32_i32_e32 v8, v8
	v_cvt_f32_i32_e32 v9, v9
	;; [unrolled: 1-line block ×5, first 2 shown]
	v_cvt_f16_f32_e32 v68, v0
	v_cvt_f32_i32_e32 v0, v7
	v_cvt_f32_i32_e32 v1, v1
	v_sub_u32_sdwa v10, v4, v42 dst_sel:DWORD dst_unused:UNUSED_PAD src0_sel:BYTE_2 src1_sel:DWORD
	v_sub_u32_sdwa v4, v4, v42 dst_sel:DWORD dst_unused:UNUSED_PAD src0_sel:BYTE_3 src1_sel:DWORD
	v_cvt_f32_i32_e32 v10, v10
	v_cvt_f16_f32_e32 v69, v43
	v_mov_b32_e32 v43, s4
	v_cvt_f32_i32_e32 v4, v4
	v_cvt_f32_i32_e32 v63, v51
	v_cvt_f16_f32_e32 v65, v8
	v_cvt_f16_f32_e32 v66, v9
	;; [unrolled: 1-line block ×7, first 2 shown]
	v_sub_u32_sdwa v0, v3, v39 dst_sel:DWORD dst_unused:UNUSED_PAD src0_sel:BYTE_1 src1_sel:DWORD
	v_sub_u32_sdwa v1, v3, v39 dst_sel:DWORD dst_unused:UNUSED_PAD src0_sel:BYTE_2 src1_sel:DWORD
	v_sub_u32_sdwa v2, v3, v39 dst_sel:DWORD dst_unused:UNUSED_PAD src0_sel:BYTE_3 src1_sel:DWORD
	ds_read_b128 v[6:9], v43
	v_cvt_f32_i32_e32 v0, v0
	v_cvt_f32_i32_e32 v1, v1
	;; [unrolled: 1-line block ×5, first 2 shown]
	v_cvt_f16_f32_e32 v67, v10
	v_cvt_f16_f32_e32 v60, v4
	v_sub_u32_sdwa v11, v5, v41 dst_sel:DWORD dst_unused:UNUSED_PAD src0_sel:BYTE_0 src1_sel:DWORD
	v_cvt_f16_f32_e32 v80, v0
	v_cvt_f16_f32_e32 v81, v1
	;; [unrolled: 1-line block ×3, first 2 shown]
	ds_read_b128 v[0:3], v43 offset:16
	s_waitcnt lgkmcnt(1)
	v_fma_mix_f32 v4, v65, v6, 0 op_sel_hi:[1,1,0]
	v_sub_u32_sdwa v12, v5, v41 dst_sel:DWORD dst_unused:UNUSED_PAD src0_sel:BYTE_1 src1_sel:DWORD
	v_cvt_f32_i32_e32 v11, v11
	v_cvt_f16_f32_e32 v70, v56
	v_fma_mix_f32 v4, v66, v6, v4 op_sel:[0,1,0] op_sel_hi:[1,1,0]
	v_sub_u32_sdwa v13, v5, v41 dst_sel:DWORD dst_unused:UNUSED_PAD src0_sel:BYTE_2 src1_sel:DWORD
	v_cvt_f32_i32_e32 v12, v12
	v_cvt_f16_f32_e32 v71, v57
	v_fma_mix_f32 v4, v67, v7, v4 op_sel_hi:[1,1,0]
	v_sub_u32_sdwa v5, v5, v41 dst_sel:DWORD dst_unused:UNUSED_PAD src0_sel:BYTE_3 src1_sel:DWORD
	v_cvt_f32_i32_e32 v13, v13
	v_fma_mix_f32 v4, v60, v7, v4 op_sel:[0,1,0] op_sel_hi:[1,1,0]
	v_cvt_f32_i32_e32 v5, v5
	v_fma_mix_f32 v4, v69, v8, v4 op_sel_hi:[1,1,0]
	v_cvt_f32_i32_e32 v58, v49
	v_cvt_f32_i32_e32 v72, v52
	v_cvt_f16_f32_e32 v52, v11
	v_fma_mix_f32 v4, v70, v8, v4 op_sel:[0,1,0] op_sel_hi:[1,1,0]
	v_cvt_f32_i32_e32 v74, v53
	v_cvt_f16_f32_e32 v53, v12
	v_fma_mix_f32 v4, v71, v9, v4 op_sel_hi:[1,1,0]
	v_cvt_f32_i32_e32 v75, v54
	v_cvt_f16_f32_e32 v54, v13
	v_fma_mix_f32 v4, v68, v9, v4 op_sel:[0,1,0] op_sel_hi:[1,1,0]
	v_cvt_f16_f32_e32 v55, v5
	v_fma_mixlo_f16 v4, v4, v28, 0 op_sel_hi:[0,1,0]
	v_cvt_f16_f32_e32 v61, v58
	v_cvt_f16_f32_e32 v56, v72
	v_add_f16_e32 v72, v73, v4
	v_fma_mix_f32 v4, v52, v6, 0 op_sel_hi:[1,1,0]
	v_cvt_f32_i32_e32 v14, v14
	v_fma_mix_f32 v4, v53, v6, v4 op_sel:[0,1,0] op_sel_hi:[1,1,0]
	v_cvt_f32_i32_e32 v15, v15
	v_cvt_f16_f32_e32 v63, v63
	v_fma_mix_f32 v4, v54, v7, v4 op_sel_hi:[1,1,0]
	v_cvt_f32_i32_e32 v16, v16
	v_fma_mix_f32 v4, v55, v7, v4 op_sel:[0,1,0] op_sel_hi:[1,1,0]
	v_cvt_f16_f32_e32 v48, v14
	v_fma_mix_f32 v4, v61, v8, v4 op_sel_hi:[1,1,0]
	v_cvt_f16_f32_e32 v49, v15
	v_fma_mix_f32 v4, v62, v8, v4 op_sel:[0,1,0] op_sel_hi:[1,1,0]
	v_cvt_f16_f32_e32 v50, v16
	v_fma_mix_f32 v4, v63, v9, v4 op_sel_hi:[1,1,0]
	v_cvt_f32_i32_e32 v17, v17
	v_fma_mix_f32 v4, v64, v9, v4 op_sel:[0,1,0] op_sel_hi:[1,1,0]
	v_cvt_f16_f32_e32 v57, v74
	v_fma_mixlo_f16 v4, v4, v28, 0 op_sel:[0,1,0] op_sel_hi:[0,1,0]
	v_add_f16_sdwa v73, v73, v4 dst_sel:DWORD dst_unused:UNUSED_PAD src0_sel:WORD_1 src1_sel:DWORD
	v_fma_mix_f32 v4, v48, v6, 0 op_sel_hi:[1,1,0]
	v_cvt_f32_i32_e32 v18, v18
	v_fma_mix_f32 v4, v49, v6, v4 op_sel:[0,1,0] op_sel_hi:[1,1,0]
	v_cvt_f16_f32_e32 v58, v75
	v_fma_mix_f32 v4, v50, v7, v4 op_sel_hi:[1,1,0]
	v_cvt_f32_i32_e32 v19, v19
	v_fma_mix_f32 v4, v51, v7, v4 op_sel:[0,1,0] op_sel_hi:[1,1,0]
	v_cvt_f16_f32_e32 v47, v17
	v_fma_mix_f32 v4, v56, v8, v4 op_sel_hi:[1,1,0]
	v_cvt_f16_f32_e32 v76, v18
	v_fma_mix_f32 v4, v57, v8, v4 op_sel:[0,1,0] op_sel_hi:[1,1,0]
	v_cvt_f16_f32_e32 v77, v19
	v_fma_mix_f32 v4, v58, v9, v4 op_sel_hi:[1,1,0]
	ds_read_b128 v[16:19], v43 offset:528
	v_fma_mix_f32 v4, v59, v9, v4 op_sel:[0,1,0] op_sel_hi:[1,1,0]
	s_add_i32 s4, s4, 64
	v_fma_mixlo_f16 v4, v4, v29, 0 op_sel_hi:[0,1,0]
	v_add_f16_e32 v74, v25, v4
	v_fma_mix_f32 v4, v47, v6, 0 op_sel_hi:[1,1,0]
	s_cmp_ge_i32 s25, s26
	v_fma_mix_f32 v4, v76, v6, v4 op_sel:[0,1,0] op_sel_hi:[1,1,0]
	s_nop 0
	v_fma_mix_f32 v4, v77, v7, v4 op_sel_hi:[1,1,0]
	s_nop 0
	v_fma_mix_f32 v4, v78, v7, v4 op_sel:[0,1,0] op_sel_hi:[1,1,0]
	s_nop 0
	v_fma_mix_f32 v4, v79, v8, v4 op_sel_hi:[1,1,0]
	s_nop 0
	v_fma_mix_f32 v4, v80, v8, v4 op_sel:[0,1,0] op_sel_hi:[1,1,0]
	s_nop 0
	v_fma_mix_f32 v8, v81, v9, v4 op_sel_hi:[1,1,0]
	ds_read_b128 v[4:7], v43 offset:256
	v_fma_mix_f32 v8, v82, v9, v8 op_sel:[0,1,0] op_sel_hi:[1,1,0]
	s_nop 0
	v_fma_mixlo_f16 v8, v8, v29, 0 op_sel:[0,1,0] op_sel_hi:[0,1,0]
	v_add_f16_sdwa v75, v25, v8 dst_sel:DWORD dst_unused:UNUSED_PAD src0_sel:WORD_1 src1_sel:DWORD
	ds_read_b128 v[8:11], v43 offset:272
	s_waitcnt lgkmcnt(1)
	v_fma_mix_f32 v12, v65, v4, 0 op_sel_hi:[1,1,0]
	s_nop 0
	v_fma_mix_f32 v12, v66, v4, v12 op_sel:[0,1,0] op_sel_hi:[1,1,0]
	s_nop 0
	v_fma_mix_f32 v12, v67, v5, v12 op_sel_hi:[1,1,0]
	s_nop 0
	v_fma_mix_f32 v12, v60, v5, v12 op_sel:[0,1,0] op_sel_hi:[1,1,0]
	s_nop 0
	;; [unrolled: 4-line block ×4, first 2 shown]
	v_fma_mixlo_f16 v12, v12, v28, 0 op_sel_hi:[0,1,0]
	v_add_f16_e32 v91, v24, v12
	v_fma_mix_f32 v12, v52, v4, 0 op_sel_hi:[1,1,0]
	s_nop 0
	v_fma_mix_f32 v12, v53, v4, v12 op_sel:[0,1,0] op_sel_hi:[1,1,0]
	s_nop 0
	v_fma_mix_f32 v12, v54, v5, v12 op_sel_hi:[1,1,0]
	s_nop 0
	v_fma_mix_f32 v12, v55, v5, v12 op_sel:[0,1,0] op_sel_hi:[1,1,0]
	s_nop 0
	;; [unrolled: 4-line block ×4, first 2 shown]
	v_fma_mixlo_f16 v12, v12, v28, 0 op_sel:[0,1,0] op_sel_hi:[0,1,0]
	v_add_f16_sdwa v92, v24, v12 dst_sel:DWORD dst_unused:UNUSED_PAD src0_sel:WORD_1 src1_sel:DWORD
	v_fma_mix_f32 v12, v48, v4, 0 op_sel_hi:[1,1,0]
	s_nop 0
	v_fma_mix_f32 v12, v49, v4, v12 op_sel:[0,1,0] op_sel_hi:[1,1,0]
	s_nop 0
	v_fma_mix_f32 v12, v50, v5, v12 op_sel_hi:[1,1,0]
	s_nop 0
	v_fma_mix_f32 v12, v51, v5, v12 op_sel:[0,1,0] op_sel_hi:[1,1,0]
	s_nop 0
	;; [unrolled: 4-line block ×4, first 2 shown]
	v_fma_mixlo_f16 v12, v12, v29, 0 op_sel_hi:[0,1,0]
	v_add_f16_e32 v93, v23, v12
	v_fma_mix_f32 v12, v47, v4, 0 op_sel_hi:[1,1,0]
	s_nop 0
	v_fma_mix_f32 v4, v76, v4, v12 op_sel:[0,1,0] op_sel_hi:[1,1,0]
	ds_read_b128 v[12:15], v43 offset:512
	v_fma_mix_f32 v4, v77, v5, v4 op_sel_hi:[1,1,0]
	s_nop 0
	v_fma_mix_f32 v4, v78, v5, v4 op_sel:[0,1,0] op_sel_hi:[1,1,0]
	s_nop 0
	v_fma_mix_f32 v4, v79, v6, v4 op_sel_hi:[1,1,0]
	s_nop 0
	v_fma_mix_f32 v4, v80, v6, v4 op_sel:[0,1,0] op_sel_hi:[1,1,0]
	s_nop 0
	;; [unrolled: 4-line block ×3, first 2 shown]
	v_fma_mixlo_f16 v4, v4, v29, 0 op_sel:[0,1,0] op_sel_hi:[0,1,0]
	v_add_f16_sdwa v94, v23, v4 dst_sel:DWORD dst_unused:UNUSED_PAD src0_sel:WORD_1 src1_sel:DWORD
	s_waitcnt lgkmcnt(0)
	v_fma_mix_f32 v4, v65, v12, 0 op_sel_hi:[1,1,0]
	s_nop 0
	v_fma_mix_f32 v4, v66, v12, v4 op_sel:[0,1,0] op_sel_hi:[1,1,0]
	s_nop 0
	v_fma_mix_f32 v4, v67, v13, v4 op_sel_hi:[1,1,0]
	s_nop 0
	v_fma_mix_f32 v4, v60, v13, v4 op_sel:[0,1,0] op_sel_hi:[1,1,0]
	s_nop 0
	v_fma_mix_f32 v4, v69, v14, v4 op_sel_hi:[1,1,0]
	s_nop 0
	v_fma_mix_f32 v4, v70, v14, v4 op_sel:[0,1,0] op_sel_hi:[1,1,0]
	s_nop 0
	v_fma_mix_f32 v4, v71, v15, v4 op_sel_hi:[1,1,0]
	s_nop 0
	v_fma_mix_f32 v4, v68, v15, v4 op_sel:[0,1,0] op_sel_hi:[1,1,0]
	s_nop 0
	v_fma_mixlo_f16 v4, v4, v28, 0 op_sel_hi:[0,1,0]
	v_add_f16_e32 v95, v22, v4
	v_fma_mix_f32 v4, v52, v12, 0 op_sel_hi:[1,1,0]
	s_nop 0
	v_fma_mix_f32 v4, v53, v12, v4 op_sel:[0,1,0] op_sel_hi:[1,1,0]
	s_nop 0
	v_fma_mix_f32 v4, v54, v13, v4 op_sel_hi:[1,1,0]
	s_nop 0
	v_fma_mix_f32 v4, v55, v13, v4 op_sel:[0,1,0] op_sel_hi:[1,1,0]
	s_nop 0
	;; [unrolled: 4-line block ×4, first 2 shown]
	v_fma_mixlo_f16 v4, v4, v28, 0 op_sel:[0,1,0] op_sel_hi:[0,1,0]
	v_add_f16_sdwa v96, v22, v4 dst_sel:DWORD dst_unused:UNUSED_PAD src0_sel:WORD_1 src1_sel:DWORD
	v_fma_mix_f32 v4, v48, v12, 0 op_sel_hi:[1,1,0]
	ds_read_b128 v[22:25], v43 offset:768
	v_fma_mix_f32 v4, v49, v12, v4 op_sel:[0,1,0] op_sel_hi:[1,1,0]
	s_nop 0
	v_fma_mix_f32 v4, v50, v13, v4 op_sel_hi:[1,1,0]
	s_nop 0
	v_fma_mix_f32 v4, v51, v13, v4 op_sel:[0,1,0] op_sel_hi:[1,1,0]
	s_nop 0
	v_fma_mix_f32 v4, v56, v14, v4 op_sel_hi:[1,1,0]
	s_nop 0
	;; [unrolled: 4-line block ×3, first 2 shown]
	v_fma_mix_f32 v4, v59, v15, v4 op_sel:[0,1,0] op_sel_hi:[1,1,0]
	s_nop 0
	v_fma_mixlo_f16 v4, v4, v29, 0 op_sel_hi:[0,1,0]
	v_add_f16_e32 v97, v21, v4
	v_fma_mix_f32 v4, v47, v12, 0 op_sel_hi:[1,1,0]
	s_nop 0
	v_fma_mix_f32 v4, v76, v12, v4 op_sel:[0,1,0] op_sel_hi:[1,1,0]
	s_nop 0
	v_fma_mix_f32 v4, v77, v13, v4 op_sel_hi:[1,1,0]
	s_nop 0
	v_fma_mix_f32 v4, v78, v13, v4 op_sel:[0,1,0] op_sel_hi:[1,1,0]
	s_nop 0
	;; [unrolled: 4-line block ×4, first 2 shown]
	v_fma_mixlo_f16 v4, v4, v29, 0 op_sel:[0,1,0] op_sel_hi:[0,1,0]
	v_add_f16_sdwa v98, v21, v4 dst_sel:DWORD dst_unused:UNUSED_PAD src0_sel:WORD_1 src1_sel:DWORD
	ds_read_b128 v[4:7], v43 offset:784
	s_waitcnt lgkmcnt(1)
	v_fma_mix_f32 v12, v65, v22, 0 op_sel_hi:[1,1,0]
	s_nop 0
	v_fma_mix_f32 v12, v66, v22, v12 op_sel:[0,1,0] op_sel_hi:[1,1,0]
	s_nop 0
	v_fma_mix_f32 v12, v67, v23, v12 op_sel_hi:[1,1,0]
	s_nop 0
	v_fma_mix_f32 v12, v60, v23, v12 op_sel:[0,1,0] op_sel_hi:[1,1,0]
	s_nop 0
	;; [unrolled: 4-line block ×4, first 2 shown]
	v_fma_mixlo_f16 v12, v12, v28, 0 op_sel_hi:[0,1,0]
	v_add_f16_e32 v83, v20, v12
	v_fma_mix_f32 v12, v52, v22, 0 op_sel_hi:[1,1,0]
	s_nop 0
	v_fma_mix_f32 v12, v53, v22, v12 op_sel:[0,1,0] op_sel_hi:[1,1,0]
	s_nop 0
	v_fma_mix_f32 v12, v54, v23, v12 op_sel_hi:[1,1,0]
	s_nop 0
	v_fma_mix_f32 v12, v55, v23, v12 op_sel:[0,1,0] op_sel_hi:[1,1,0]
	s_nop 0
	;; [unrolled: 4-line block ×4, first 2 shown]
	v_fma_mixlo_f16 v12, v12, v28, 0 op_sel:[0,1,0] op_sel_hi:[0,1,0]
	v_add_f16_sdwa v84, v20, v12 dst_sel:DWORD dst_unused:UNUSED_PAD src0_sel:WORD_1 src1_sel:DWORD
	v_fma_mix_f32 v12, v48, v22, 0 op_sel_hi:[1,1,0]
	s_nop 0
	v_fma_mix_f32 v12, v49, v22, v12 op_sel:[0,1,0] op_sel_hi:[1,1,0]
	s_nop 0
	v_fma_mix_f32 v12, v50, v23, v12 op_sel_hi:[1,1,0]
	s_nop 0
	v_fma_mix_f32 v12, v51, v23, v12 op_sel:[0,1,0] op_sel_hi:[1,1,0]
	s_nop 0
	;; [unrolled: 4-line block ×4, first 2 shown]
	v_fma_mixlo_f16 v12, v12, v29, 0 op_sel_hi:[0,1,0]
	v_add_f16_e32 v85, v44, v12
	v_fma_mix_f32 v12, v47, v22, 0 op_sel_hi:[1,1,0]
	s_nop 0
	v_fma_mix_f32 v12, v76, v22, v12 op_sel:[0,1,0] op_sel_hi:[1,1,0]
	s_nop 0
	v_fma_mix_f32 v12, v77, v23, v12 op_sel_hi:[1,1,0]
	s_nop 0
	v_fma_mix_f32 v12, v78, v23, v12 op_sel:[0,1,0] op_sel_hi:[1,1,0]
	ds_read_b128 v[20:23], v43 offset:1024
	v_fma_mix_f32 v12, v79, v24, v12 op_sel_hi:[1,1,0]
	s_nop 0
	v_fma_mix_f32 v12, v80, v24, v12 op_sel:[0,1,0] op_sel_hi:[1,1,0]
	s_nop 0
	v_fma_mix_f32 v12, v81, v25, v12 op_sel_hi:[1,1,0]
	s_nop 0
	v_fma_mix_f32 v12, v82, v25, v12 op_sel:[0,1,0] op_sel_hi:[1,1,0]
	s_nop 0
	v_fma_mixlo_f16 v12, v12, v29, 0 op_sel:[0,1,0] op_sel_hi:[0,1,0]
	v_add_f16_sdwa v90, v44, v12 dst_sel:DWORD dst_unused:UNUSED_PAD src0_sel:WORD_1 src1_sel:DWORD
	ds_read_b128 v[12:15], v43 offset:1040
	s_waitcnt lgkmcnt(1)
	v_fma_mix_f32 v24, v65, v20, 0 op_sel_hi:[1,1,0]
	s_nop 0
	v_fma_mix_f32 v24, v66, v20, v24 op_sel:[0,1,0] op_sel_hi:[1,1,0]
	s_nop 0
	v_fma_mix_f32 v44, v67, v21, v24 op_sel_hi:[1,1,0]
	v_lshl_add_u64 v[24:25], v[32:33], 0, s[2:3]
	global_load_dwordx4 v[86:89], v[24:25], off
	v_lshl_add_u64 v[24:25], v[24:25], 0, s[2:3]
	global_load_dwordx4 v[102:105], v[24:25], off
	v_fma_mix_f32 v32, v60, v21, v44 op_sel:[0,1,0] op_sel_hi:[1,1,0]
	s_nop 0
	v_fma_mix_f32 v32, v69, v22, v32 op_sel_hi:[1,1,0]
	s_nop 0
	v_fma_mix_f32 v32, v70, v22, v32 op_sel:[0,1,0] op_sel_hi:[1,1,0]
	s_nop 0
	v_fma_mix_f32 v32, v71, v23, v32 op_sel_hi:[1,1,0]
	s_nop 0
	v_fma_mix_f32 v32, v68, v23, v32 op_sel:[0,1,0] op_sel_hi:[1,1,0]
	s_nop 0
	v_fma_mixlo_f16 v32, v32, v28, 0 op_sel_hi:[0,1,0]
	v_add_f16_e32 v60, v46, v32
	v_fma_mix_f32 v32, v52, v20, 0 op_sel_hi:[1,1,0]
	s_nop 0
	v_fma_mix_f32 v32, v53, v20, v32 op_sel:[0,1,0] op_sel_hi:[1,1,0]
	s_nop 0
	v_fma_mix_f32 v32, v54, v21, v32 op_sel_hi:[1,1,0]
	s_nop 0
	v_fma_mix_f32 v32, v55, v21, v32 op_sel:[0,1,0] op_sel_hi:[1,1,0]
	s_nop 0
	v_fma_mix_f32 v32, v61, v22, v32 op_sel_hi:[1,1,0]
	s_nop 0
	v_fma_mix_f32 v32, v62, v22, v32 op_sel:[0,1,0] op_sel_hi:[1,1,0]
	s_nop 0
	v_fma_mix_f32 v32, v63, v23, v32 op_sel_hi:[1,1,0]
	s_nop 0
	v_fma_mix_f32 v32, v64, v23, v32 op_sel:[0,1,0] op_sel_hi:[1,1,0]
	s_nop 0
	v_fma_mixlo_f16 v32, v32, v28, 0 op_sel:[0,1,0] op_sel_hi:[0,1,0]
	v_add_f16_sdwa v54, v46, v32 dst_sel:DWORD dst_unused:UNUSED_PAD src0_sel:WORD_1 src1_sel:DWORD
	v_fma_mix_f32 v32, v48, v20, 0 op_sel_hi:[1,1,0]
	s_nop 0
	v_fma_mix_f32 v32, v49, v20, v32 op_sel:[0,1,0] op_sel_hi:[1,1,0]
	s_nop 0
	v_fma_mix_f32 v32, v50, v21, v32 op_sel_hi:[1,1,0]
	s_nop 0
	v_fma_mix_f32 v32, v51, v21, v32 op_sel:[0,1,0] op_sel_hi:[1,1,0]
	s_nop 0
	;; [unrolled: 4-line block ×4, first 2 shown]
	v_fma_mixlo_f16 v32, v32, v29, 0 op_sel_hi:[0,1,0]
	v_add_f16_e32 v48, v45, v32
	v_fma_mix_f32 v32, v47, v20, 0 op_sel_hi:[1,1,0]
	s_nop 0
	v_fma_mix_f32 v20, v76, v20, v32 op_sel:[0,1,0] op_sel_hi:[1,1,0]
	s_nop 0
	v_fma_mix_f32 v20, v77, v21, v20 op_sel_hi:[1,1,0]
	s_nop 0
	v_fma_mix_f32 v20, v78, v21, v20 op_sel:[0,1,0] op_sel_hi:[1,1,0]
	s_waitcnt vmcnt(1)
	v_sub_u32_sdwa v21, v86, v42 dst_sel:DWORD dst_unused:UNUSED_PAD src0_sel:BYTE_1 src1_sel:DWORD
	v_fma_mix_f32 v20, v79, v22, v20 op_sel_hi:[1,1,0]
	v_cvt_f32_i32_e32 v21, v21
	v_fma_mix_f32 v20, v80, v22, v20 op_sel:[0,1,0] op_sel_hi:[1,1,0]
	v_sub_u32_sdwa v22, v86, v42 dst_sel:DWORD dst_unused:UNUSED_PAD src0_sel:BYTE_2 src1_sel:DWORD
	v_fma_mix_f32 v20, v81, v23, v20 op_sel_hi:[1,1,0]
	v_cvt_f32_i32_e32 v22, v22
	v_fma_mix_f32 v20, v82, v23, v20 op_sel:[0,1,0] op_sel_hi:[1,1,0]
	v_sub_u32_sdwa v23, v86, v42 dst_sel:DWORD dst_unused:UNUSED_PAD src0_sel:BYTE_3 src1_sel:DWORD
	v_fma_mixlo_f16 v20, v20, v29, 0 op_sel:[0,1,0] op_sel_hi:[0,1,0]
	v_add_f16_sdwa v49, v45, v20 dst_sel:DWORD dst_unused:UNUSED_PAD src0_sel:WORD_1 src1_sel:DWORD
	v_sub_u32_sdwa v20, v86, v42 dst_sel:DWORD dst_unused:UNUSED_PAD src0_sel:BYTE_0 src1_sel:DWORD
	v_cvt_f32_i32_e32 v20, v20
	v_cvt_f32_i32_e32 v23, v23
	v_cvt_f16_f32_e32 v47, v21
	v_cvt_f16_f32_e32 v55, v22
	v_cvt_f16_f32_e32 v46, v20
	s_waitcnt vmcnt(0)
	v_sub_u32_sdwa v20, v102, v42 dst_sel:DWORD dst_unused:UNUSED_PAD src0_sel:BYTE_0 src1_sel:DWORD
	v_cvt_f32_i32_e32 v20, v20
	v_cvt_f16_f32_e32 v56, v23
	v_sub_u32_sdwa v21, v102, v42 dst_sel:DWORD dst_unused:UNUSED_PAD src0_sel:BYTE_1 src1_sel:DWORD
	v_sub_u32_sdwa v22, v102, v42 dst_sel:DWORD dst_unused:UNUSED_PAD src0_sel:BYTE_2 src1_sel:DWORD
	v_cvt_f16_f32_e32 v57, v20
	v_sub_u32_sdwa v20, v87, v41 dst_sel:DWORD dst_unused:UNUSED_PAD src0_sel:BYTE_0 src1_sel:DWORD
	v_cvt_f32_i32_e32 v20, v20
	v_sub_u32_sdwa v23, v102, v42 dst_sel:DWORD dst_unused:UNUSED_PAD src0_sel:BYTE_3 src1_sel:DWORD
	v_cvt_f32_i32_e32 v21, v21
	v_cvt_f32_i32_e32 v22, v22
	v_cvt_f16_f32_e32 v62, v20
	v_sub_u32_sdwa v20, v103, v41 dst_sel:DWORD dst_unused:UNUSED_PAD src0_sel:BYTE_0 src1_sel:DWORD
	v_cvt_f32_i32_e32 v20, v20
	v_cvt_f32_i32_e32 v23, v23
	v_cvt_f16_f32_e32 v58, v21
	v_cvt_f16_f32_e32 v59, v22
	;; [unrolled: 1-line block ×3, first 2 shown]
	v_sub_u32_sdwa v20, v88, v40 dst_sel:DWORD dst_unused:UNUSED_PAD src0_sel:BYTE_0 src1_sel:DWORD
	v_cvt_f32_i32_e32 v20, v20
	v_cvt_f16_f32_e32 v61, v23
	v_sub_u32_sdwa v21, v87, v41 dst_sel:DWORD dst_unused:UNUSED_PAD src0_sel:BYTE_1 src1_sel:DWORD
	v_sub_u32_sdwa v22, v87, v41 dst_sel:DWORD dst_unused:UNUSED_PAD src0_sel:BYTE_2 src1_sel:DWORD
	v_sub_u32_sdwa v23, v87, v41 dst_sel:DWORD dst_unused:UNUSED_PAD src0_sel:BYTE_3 src1_sel:DWORD
	v_cvt_f16_f32_e32 v76, v20
	v_sub_u32_sdwa v20, v104, v40 dst_sel:DWORD dst_unused:UNUSED_PAD src0_sel:BYTE_0 src1_sel:DWORD
	v_cvt_f32_i32_e32 v21, v21
	v_cvt_f32_i32_e32 v22, v22
	v_cvt_f32_i32_e32 v23, v23
	v_cvt_f32_i32_e32 v20, v20
	v_cvt_f16_f32_e32 v63, v21
	v_cvt_f16_f32_e32 v64, v22
	v_cvt_f16_f32_e32 v65, v23
	v_sub_u32_sdwa v21, v103, v41 dst_sel:DWORD dst_unused:UNUSED_PAD src0_sel:BYTE_1 src1_sel:DWORD
	v_sub_u32_sdwa v22, v103, v41 dst_sel:DWORD dst_unused:UNUSED_PAD src0_sel:BYTE_2 src1_sel:DWORD
	v_sub_u32_sdwa v23, v103, v41 dst_sel:DWORD dst_unused:UNUSED_PAD src0_sel:BYTE_3 src1_sel:DWORD
	v_cvt_f16_f32_e32 v80, v20
	v_sub_u32_sdwa v20, v89, v39 dst_sel:DWORD dst_unused:UNUSED_PAD src0_sel:BYTE_0 src1_sel:DWORD
	v_cvt_f32_i32_e32 v21, v21
	v_cvt_f32_i32_e32 v22, v22
	v_cvt_f32_i32_e32 v23, v23
	v_cvt_f32_i32_e32 v20, v20
	v_cvt_f16_f32_e32 v69, v21
	v_cvt_f16_f32_e32 v70, v22
	;; [unrolled: 12-line block ×3, first 2 shown]
	v_cvt_f16_f32_e32 v79, v23
	v_sub_u32_sdwa v21, v104, v40 dst_sel:DWORD dst_unused:UNUSED_PAD src0_sel:BYTE_1 src1_sel:DWORD
	v_sub_u32_sdwa v22, v104, v40 dst_sel:DWORD dst_unused:UNUSED_PAD src0_sel:BYTE_2 src1_sel:DWORD
	v_sub_u32_sdwa v23, v104, v40 dst_sel:DWORD dst_unused:UNUSED_PAD src0_sel:BYTE_3 src1_sel:DWORD
	v_cvt_f16_f32_e32 v104, v20
	v_fma_mix_f32 v20, v46, v0, 0 op_sel_hi:[1,1,0]
	v_cvt_f32_i32_e32 v21, v21
	v_fma_mix_f32 v20, v47, v0, v20 op_sel:[0,1,0] op_sel_hi:[1,1,0]
	v_cvt_f32_i32_e32 v22, v22
	v_fma_mix_f32 v20, v55, v1, v20 op_sel_hi:[1,1,0]
	v_cvt_f32_i32_e32 v23, v23
	v_fma_mix_f32 v20, v56, v1, v20 op_sel:[0,1,0] op_sel_hi:[1,1,0]
	v_cvt_f16_f32_e32 v81, v21
	v_fma_mix_f32 v20, v57, v2, v20 op_sel_hi:[1,1,0]
	v_sub_u32_sdwa v21, v89, v39 dst_sel:DWORD dst_unused:UNUSED_PAD src0_sel:BYTE_1 src1_sel:DWORD
	v_fma_mix_f32 v20, v58, v2, v20 op_sel:[0,1,0] op_sel_hi:[1,1,0]
	v_cvt_f16_f32_e32 v82, v22
	v_fma_mix_f32 v20, v59, v3, v20 op_sel_hi:[1,1,0]
	v_cvt_f32_i32_e32 v21, v21
	v_fma_mix_f32 v20, v61, v3, v20 op_sel:[0,1,0] op_sel_hi:[1,1,0]
	v_sub_u32_sdwa v22, v89, v39 dst_sel:DWORD dst_unused:UNUSED_PAD src0_sel:BYTE_2 src1_sel:DWORD
	v_fma_mixlo_f16 v20, v20, v28, 0 op_sel_hi:[0,1,0]
	v_add_f16_e32 v86, v72, v20
	v_fma_mix_f32 v20, v62, v0, 0 op_sel_hi:[1,1,0]
	v_cvt_f16_f32_e32 v99, v23
	v_fma_mix_f32 v20, v63, v0, v20 op_sel:[0,1,0] op_sel_hi:[1,1,0]
	v_cvt_f32_i32_e32 v22, v22
	v_fma_mix_f32 v20, v64, v1, v20 op_sel_hi:[1,1,0]
	v_sub_u32_sdwa v23, v89, v39 dst_sel:DWORD dst_unused:UNUSED_PAD src0_sel:BYTE_3 src1_sel:DWORD
	v_fma_mix_f32 v20, v65, v1, v20 op_sel:[0,1,0] op_sel_hi:[1,1,0]
	v_cvt_f32_i32_e32 v23, v23
	v_fma_mix_f32 v20, v68, v2, v20 op_sel_hi:[1,1,0]
	v_cvt_f16_f32_e32 v101, v21
	v_fma_mix_f32 v20, v69, v2, v20 op_sel:[0,1,0] op_sel_hi:[1,1,0]
	v_sub_u32_sdwa v21, v105, v39 dst_sel:DWORD dst_unused:UNUSED_PAD src0_sel:BYTE_1 src1_sel:DWORD
	v_fma_mix_f32 v20, v70, v3, v20 op_sel_hi:[1,1,0]
	v_cvt_f16_f32_e32 v102, v22
	v_fma_mix_f32 v20, v71, v3, v20 op_sel:[0,1,0] op_sel_hi:[1,1,0]
	v_cvt_f32_i32_e32 v21, v21
	v_fma_mixlo_f16 v20, v20, v28, 0 op_sel:[0,1,0] op_sel_hi:[0,1,0]
	v_add_f16_e32 v87, v73, v20
	v_fma_mix_f32 v20, v76, v0, 0 op_sel_hi:[1,1,0]
	v_sub_u32_sdwa v22, v105, v39 dst_sel:DWORD dst_unused:UNUSED_PAD src0_sel:BYTE_2 src1_sel:DWORD
	v_fma_mix_f32 v20, v77, v0, v20 op_sel:[0,1,0] op_sel_hi:[1,1,0]
	v_cvt_f16_f32_e32 v103, v23
	v_fma_mix_f32 v20, v78, v1, v20 op_sel_hi:[1,1,0]
	v_cvt_f32_i32_e32 v22, v22
	v_fma_mix_f32 v20, v79, v1, v20 op_sel:[0,1,0] op_sel_hi:[1,1,0]
	v_sub_u32_sdwa v23, v105, v39 dst_sel:DWORD dst_unused:UNUSED_PAD src0_sel:BYTE_3 src1_sel:DWORD
	v_fma_mix_f32 v20, v80, v2, v20 op_sel_hi:[1,1,0]
	v_cvt_f32_i32_e32 v23, v23
	v_fma_mix_f32 v20, v81, v2, v20 op_sel:[0,1,0] op_sel_hi:[1,1,0]
	v_cvt_f16_f32_e32 v105, v21
	v_fma_mix_f32 v20, v82, v3, v20 op_sel_hi:[1,1,0]
	v_cvt_f16_f32_e32 v106, v22
	v_fma_mix_f32 v20, v99, v3, v20 op_sel:[0,1,0] op_sel_hi:[1,1,0]
	v_cvt_f16_f32_e32 v107, v23
	v_fma_mixlo_f16 v20, v20, v29, 0 op_sel_hi:[0,1,0]
	v_add_f16_e32 v88, v74, v20
	v_fma_mix_f32 v20, v100, v0, 0 op_sel_hi:[1,1,0]
	s_nop 0
	v_fma_mix_f32 v0, v101, v0, v20 op_sel:[0,1,0] op_sel_hi:[1,1,0]
	s_nop 0
	v_fma_mix_f32 v0, v102, v1, v0 op_sel_hi:[1,1,0]
	s_nop 0
	v_fma_mix_f32 v0, v103, v1, v0 op_sel:[0,1,0] op_sel_hi:[1,1,0]
	s_nop 0
	;; [unrolled: 4-line block ×3, first 2 shown]
	v_fma_mix_f32 v0, v106, v3, v0 op_sel_hi:[1,1,0]
	s_nop 0
	v_fma_mix_f32 v0, v107, v3, v0 op_sel:[0,1,0] op_sel_hi:[1,1,0]
	v_lshl_add_u64 v[2:3], v[24:25], 0, s[2:3]
	v_fma_mixlo_f16 v0, v0, v29, 0 op_sel:[0,1,0] op_sel_hi:[0,1,0]
	v_add_f16_e32 v89, v75, v0
	v_fma_mix_f32 v0, v46, v8, 0 op_sel_hi:[1,1,0]
	global_load_dwordx4 v[20:23], v[2:3], off
	v_fma_mix_f32 v0, v47, v8, v0 op_sel:[0,1,0] op_sel_hi:[1,1,0]
	v_lshl_add_u64 v[24:25], v[2:3], 0, s[2:3]
	v_fma_mix_f32 v0, v55, v9, v0 op_sel_hi:[1,1,0]
	s_nop 0
	v_fma_mix_f32 v0, v56, v9, v0 op_sel:[0,1,0] op_sel_hi:[1,1,0]
	s_nop 0
	v_fma_mix_f32 v0, v57, v10, v0 op_sel_hi:[1,1,0]
	s_nop 0
	v_fma_mix_f32 v0, v58, v10, v0 op_sel:[0,1,0] op_sel_hi:[1,1,0]
	s_nop 0
	v_fma_mix_f32 v0, v59, v11, v0 op_sel_hi:[1,1,0]
	s_nop 0
	v_fma_mix_f32 v0, v61, v11, v0 op_sel:[0,1,0] op_sel_hi:[1,1,0]
	s_nop 0
	v_fma_mixlo_f16 v0, v0, v28, 0 op_sel_hi:[0,1,0]
	v_add_f16_e32 v51, v91, v0
	v_fma_mix_f32 v0, v62, v8, 0 op_sel_hi:[1,1,0]
	s_nop 0
	v_fma_mix_f32 v0, v63, v8, v0 op_sel:[0,1,0] op_sel_hi:[1,1,0]
	s_nop 0
	v_fma_mix_f32 v0, v64, v9, v0 op_sel_hi:[1,1,0]
	s_nop 0
	v_fma_mix_f32 v0, v65, v9, v0 op_sel:[0,1,0] op_sel_hi:[1,1,0]
	s_nop 0
	v_fma_mix_f32 v0, v68, v10, v0 op_sel_hi:[1,1,0]
	s_nop 0
	v_fma_mix_f32 v0, v69, v10, v0 op_sel:[0,1,0] op_sel_hi:[1,1,0]
	s_nop 0
	v_fma_mix_f32 v0, v70, v11, v0 op_sel_hi:[1,1,0]
	s_nop 0
	v_fma_mix_f32 v0, v71, v11, v0 op_sel:[0,1,0] op_sel_hi:[1,1,0]
	s_nop 0
	v_fma_mixlo_f16 v0, v0, v28, 0 op_sel:[0,1,0] op_sel_hi:[0,1,0]
	v_add_f16_e32 v52, v92, v0
	v_fma_mix_f32 v0, v76, v8, 0 op_sel_hi:[1,1,0]
	s_nop 0
	v_fma_mix_f32 v0, v77, v8, v0 op_sel:[0,1,0] op_sel_hi:[1,1,0]
	s_nop 0
	v_fma_mix_f32 v0, v78, v9, v0 op_sel_hi:[1,1,0]
	s_nop 0
	v_fma_mix_f32 v0, v79, v9, v0 op_sel:[0,1,0] op_sel_hi:[1,1,0]
	s_nop 0
	v_fma_mix_f32 v0, v80, v10, v0 op_sel_hi:[1,1,0]
	s_nop 0
	v_fma_mix_f32 v0, v81, v10, v0 op_sel:[0,1,0] op_sel_hi:[1,1,0]
	s_nop 0
	v_fma_mix_f32 v0, v82, v11, v0 op_sel_hi:[1,1,0]
	s_nop 0
	v_fma_mix_f32 v0, v99, v11, v0 op_sel:[0,1,0] op_sel_hi:[1,1,0]
	s_nop 0
	v_fma_mixlo_f16 v0, v0, v29, 0 op_sel_hi:[0,1,0]
	v_add_f16_e32 v53, v93, v0
	v_fma_mix_f32 v0, v100, v8, 0 op_sel_hi:[1,1,0]
	s_nop 0
	v_fma_mix_f32 v0, v101, v8, v0 op_sel:[0,1,0] op_sel_hi:[1,1,0]
	s_nop 0
	v_fma_mix_f32 v0, v102, v9, v0 op_sel_hi:[1,1,0]
	s_nop 0
	v_fma_mix_f32 v0, v103, v9, v0 op_sel:[0,1,0] op_sel_hi:[1,1,0]
	s_nop 0
	v_fma_mix_f32 v0, v104, v10, v0 op_sel_hi:[1,1,0]
	s_nop 0
	v_fma_mix_f32 v0, v105, v10, v0 op_sel:[0,1,0] op_sel_hi:[1,1,0]
	s_nop 0
	v_fma_mix_f32 v0, v106, v11, v0 op_sel_hi:[1,1,0]
	s_nop 0
	v_fma_mix_f32 v0, v107, v11, v0 op_sel:[0,1,0] op_sel_hi:[1,1,0]
	s_nop 0
	v_fma_mixlo_f16 v0, v0, v29, 0 op_sel:[0,1,0] op_sel_hi:[0,1,0]
	v_add_f16_e32 v50, v94, v0
	v_fma_mix_f32 v0, v46, v16, 0 op_sel_hi:[1,1,0]
	s_nop 0
	v_fma_mix_f32 v0, v47, v16, v0 op_sel:[0,1,0] op_sel_hi:[1,1,0]
	s_nop 0
	;; [unrolled: 36-line block ×3, first 2 shown]
	v_fma_mix_f32 v0, v78, v17, v0 op_sel_hi:[1,1,0]
	s_nop 0
	v_fma_mix_f32 v0, v79, v17, v0 op_sel:[0,1,0] op_sel_hi:[1,1,0]
	s_nop 0
	v_fma_mix_f32 v0, v80, v18, v0 op_sel_hi:[1,1,0]
	s_nop 0
	v_fma_mix_f32 v0, v81, v18, v0 op_sel:[0,1,0] op_sel_hi:[1,1,0]
	s_nop 0
	;; [unrolled: 4-line block ×3, first 2 shown]
	v_fma_mixlo_f16 v0, v0, v29, 0 op_sel_hi:[0,1,0]
	v_add_f16_e32 v45, v97, v0
	v_fma_mix_f32 v0, v100, v16, 0 op_sel_hi:[1,1,0]
	s_nop 0
	v_fma_mix_f32 v0, v101, v16, v0 op_sel:[0,1,0] op_sel_hi:[1,1,0]
	s_nop 0
	v_fma_mix_f32 v0, v102, v17, v0 op_sel_hi:[1,1,0]
	s_nop 0
	v_fma_mix_f32 v0, v103, v17, v0 op_sel:[0,1,0] op_sel_hi:[1,1,0]
	s_nop 0
	;; [unrolled: 4-line block ×3, first 2 shown]
	v_fma_mix_f32 v0, v106, v19, v0 op_sel_hi:[1,1,0]
	s_nop 0
	v_fma_mix_f32 v0, v107, v19, v0 op_sel:[0,1,0] op_sel_hi:[1,1,0]
	global_load_dwordx4 v[16:19], v[24:25], off
	v_fma_mixlo_f16 v0, v0, v29, 0 op_sel:[0,1,0] op_sel_hi:[0,1,0]
	v_add_f16_e32 v32, v98, v0
	v_fma_mix_f32 v0, v46, v4, 0 op_sel_hi:[1,1,0]
	v_lshl_add_u64 v[24:25], v[24:25], 0, s[2:3]
	v_fma_mix_f32 v0, v47, v4, v0 op_sel:[0,1,0] op_sel_hi:[1,1,0]
	s_nop 0
	v_fma_mix_f32 v0, v55, v5, v0 op_sel_hi:[1,1,0]
	s_nop 0
	v_fma_mix_f32 v0, v56, v5, v0 op_sel:[0,1,0] op_sel_hi:[1,1,0]
	s_nop 0
	v_fma_mix_f32 v0, v57, v6, v0 op_sel_hi:[1,1,0]
	s_nop 0
	v_fma_mix_f32 v0, v58, v6, v0 op_sel:[0,1,0] op_sel_hi:[1,1,0]
	s_nop 0
	v_fma_mix_f32 v0, v59, v7, v0 op_sel_hi:[1,1,0]
	s_nop 0
	v_fma_mix_f32 v10, v61, v7, v0 op_sel:[0,1,0] op_sel_hi:[1,1,0]
	v_fma_mix_f32 v0, v62, v4, 0 op_sel_hi:[1,1,0]
	s_nop 0
	v_fma_mix_f32 v0, v63, v4, v0 op_sel:[0,1,0] op_sel_hi:[1,1,0]
	s_nop 0
	v_fma_mix_f32 v0, v64, v5, v0 op_sel_hi:[1,1,0]
	s_nop 0
	v_fma_mix_f32 v0, v65, v5, v0 op_sel:[0,1,0] op_sel_hi:[1,1,0]
	s_nop 0
	v_fma_mix_f32 v0, v68, v6, v0 op_sel_hi:[1,1,0]
	s_nop 0
	v_fma_mix_f32 v0, v69, v6, v0 op_sel:[0,1,0] op_sel_hi:[1,1,0]
	s_nop 0
	v_fma_mix_f32 v0, v70, v7, v0 op_sel_hi:[1,1,0]
	s_nop 0
	v_fma_mix_f32 v11, v71, v7, v0 op_sel:[0,1,0] op_sel_hi:[1,1,0]
	v_fma_mix_f32 v0, v76, v4, 0 op_sel_hi:[1,1,0]
	s_nop 0
	;; [unrolled: 15-line block ×3, first 2 shown]
	v_fma_mix_f32 v0, v101, v4, v0 op_sel:[0,1,0] op_sel_hi:[1,1,0]
	s_nop 0
	v_fma_mix_f32 v0, v102, v5, v0 op_sel_hi:[1,1,0]
	s_nop 0
	v_fma_mix_f32 v0, v103, v5, v0 op_sel:[0,1,0] op_sel_hi:[1,1,0]
	v_fma_mixlo_f16 v5, v10, v28, 0 op_sel_hi:[0,1,0]
	v_fma_mix_f32 v0, v104, v6, v0 op_sel_hi:[1,1,0]
	v_add_f16_e32 v73, v83, v5
	v_fma_mix_f32 v0, v105, v6, v0 op_sel:[0,1,0] op_sel_hi:[1,1,0]
	v_fma_mixlo_f16 v5, v11, v28, 0 op_sel:[0,1,0] op_sel_hi:[0,1,0]
	v_fma_mix_f32 v0, v106, v7, v0 op_sel_hi:[1,1,0]
	v_add_f16_e32 v72, v84, v5
	v_fma_mix_f32 v4, v107, v7, v0 op_sel:[0,1,0] op_sel_hi:[1,1,0]
	v_fma_mixlo_f16 v5, v66, v29, 0 op_sel_hi:[0,1,0]
	v_fma_mixlo_f16 v4, v4, v29, 0 op_sel:[0,1,0] op_sel_hi:[0,1,0]
	v_add_f16_e32 v67, v90, v4
	s_waitcnt lgkmcnt(0)
	v_fma_mix_f32 v4, v46, v12, 0 op_sel_hi:[1,1,0]
	v_add_f16_e32 v66, v85, v5
	v_fma_mix_f32 v4, v47, v12, v4 op_sel:[0,1,0] op_sel_hi:[1,1,0]
	s_waitcnt vmcnt(1)
	v_sub_u32_sdwa v5, v20, v42 dst_sel:DWORD dst_unused:UNUSED_PAD src0_sel:BYTE_1 src1_sel:DWORD
	v_fma_mix_f32 v4, v55, v13, v4 op_sel_hi:[1,1,0]
	v_cvt_f32_i32_e32 v5, v5
	v_fma_mix_f32 v4, v56, v13, v4 op_sel:[0,1,0] op_sel_hi:[1,1,0]
	v_sub_u32_sdwa v10, v20, v42 dst_sel:DWORD dst_unused:UNUSED_PAD src0_sel:BYTE_2 src1_sel:DWORD
	v_fma_mix_f32 v4, v57, v14, v4 op_sel_hi:[1,1,0]
	v_cvt_f32_i32_e32 v10, v10
	v_fma_mix_f32 v4, v58, v14, v4 op_sel:[0,1,0] op_sel_hi:[1,1,0]
	v_sub_u32_sdwa v11, v20, v42 dst_sel:DWORD dst_unused:UNUSED_PAD src0_sel:BYTE_3 src1_sel:DWORD
	v_fma_mix_f32 v4, v59, v15, v4 op_sel_hi:[1,1,0]
	v_cvt_f32_i32_e32 v11, v11
	v_fma_mix_f32 v4, v61, v15, v4 op_sel:[0,1,0] op_sel_hi:[1,1,0]
	v_cvt_f16_f32_e32 v55, v5
	v_fma_mixlo_f16 v4, v4, v28, 0 op_sel_hi:[0,1,0]
	v_add_f16_e32 v46, v60, v4
	v_fma_mix_f32 v4, v62, v12, 0 op_sel_hi:[1,1,0]
	s_waitcnt vmcnt(0)
	v_sub_u32_sdwa v5, v16, v42 dst_sel:DWORD dst_unused:UNUSED_PAD src0_sel:BYTE_1 src1_sel:DWORD
	v_fma_mix_f32 v4, v63, v12, v4 op_sel:[0,1,0] op_sel_hi:[1,1,0]
	v_cvt_f16_f32_e32 v56, v10
	v_fma_mix_f32 v4, v64, v13, v4 op_sel_hi:[1,1,0]
	v_cvt_f32_i32_e32 v5, v5
	v_fma_mix_f32 v4, v65, v13, v4 op_sel:[0,1,0] op_sel_hi:[1,1,0]
	v_sub_u32_sdwa v10, v16, v42 dst_sel:DWORD dst_unused:UNUSED_PAD src0_sel:BYTE_2 src1_sel:DWORD
	v_fma_mix_f32 v4, v68, v14, v4 op_sel_hi:[1,1,0]
	v_cvt_f32_i32_e32 v10, v10
	v_fma_mix_f32 v4, v69, v14, v4 op_sel:[0,1,0] op_sel_hi:[1,1,0]
	ds_read_b128 v[6:9], v43 offset:32
	ds_read_b128 v[0:3], v43 offset:48
	v_fma_mix_f32 v4, v70, v15, v4 op_sel_hi:[1,1,0]
	v_cvt_f16_f32_e32 v57, v11
	v_fma_mix_f32 v4, v71, v15, v4 op_sel:[0,1,0] op_sel_hi:[1,1,0]
	v_sub_u32_sdwa v11, v16, v42 dst_sel:DWORD dst_unused:UNUSED_PAD src0_sel:BYTE_3 src1_sel:DWORD
	v_fma_mixlo_f16 v4, v4, v28, 0 op_sel:[0,1,0] op_sel_hi:[0,1,0]
	v_add_f16_e32 v47, v54, v4
	v_fma_mix_f32 v4, v76, v12, 0 op_sel_hi:[1,1,0]
	v_cvt_f32_i32_e32 v11, v11
	v_fma_mix_f32 v4, v77, v12, v4 op_sel:[0,1,0] op_sel_hi:[1,1,0]
	v_cvt_f16_f32_e32 v61, v5
	v_fma_mix_f32 v4, v78, v13, v4 op_sel_hi:[1,1,0]
	v_sub_u32_sdwa v5, v21, v41 dst_sel:DWORD dst_unused:UNUSED_PAD src0_sel:BYTE_1 src1_sel:DWORD
	v_fma_mix_f32 v4, v79, v13, v4 op_sel:[0,1,0] op_sel_hi:[1,1,0]
	v_cvt_f16_f32_e32 v58, v10
	v_fma_mix_f32 v4, v80, v14, v4 op_sel_hi:[1,1,0]
	v_cvt_f32_i32_e32 v5, v5
	v_fma_mix_f32 v4, v81, v14, v4 op_sel:[0,1,0] op_sel_hi:[1,1,0]
	v_sub_u32_sdwa v10, v21, v41 dst_sel:DWORD dst_unused:UNUSED_PAD src0_sel:BYTE_2 src1_sel:DWORD
	v_fma_mix_f32 v4, v82, v15, v4 op_sel_hi:[1,1,0]
	v_cvt_f32_i32_e32 v10, v10
	v_fma_mix_f32 v4, v99, v15, v4 op_sel:[0,1,0] op_sel_hi:[1,1,0]
	v_cvt_f16_f32_e32 v59, v11
	v_fma_mixlo_f16 v4, v4, v29, 0 op_sel_hi:[0,1,0]
	v_add_f16_e32 v48, v48, v4
	v_fma_mix_f32 v4, v100, v12, 0 op_sel_hi:[1,1,0]
	v_sub_u32_sdwa v11, v21, v41 dst_sel:DWORD dst_unused:UNUSED_PAD src0_sel:BYTE_3 src1_sel:DWORD
	v_fma_mix_f32 v4, v101, v12, v4 op_sel:[0,1,0] op_sel_hi:[1,1,0]
	v_cvt_f32_i32_e32 v11, v11
	v_fma_mix_f32 v4, v102, v13, v4 op_sel_hi:[1,1,0]
	v_cvt_f16_f32_e32 v63, v5
	v_fma_mix_f32 v4, v103, v13, v4 op_sel:[0,1,0] op_sel_hi:[1,1,0]
	v_sub_u32_sdwa v5, v17, v41 dst_sel:DWORD dst_unused:UNUSED_PAD src0_sel:BYTE_1 src1_sel:DWORD
	v_fma_mix_f32 v4, v104, v14, v4 op_sel_hi:[1,1,0]
	v_cvt_f16_f32_e32 v64, v10
	v_fma_mix_f32 v4, v105, v14, v4 op_sel:[0,1,0] op_sel_hi:[1,1,0]
	v_cvt_f32_i32_e32 v5, v5
	v_fma_mix_f32 v4, v106, v15, v4 op_sel_hi:[1,1,0]
	v_sub_u32_sdwa v10, v17, v41 dst_sel:DWORD dst_unused:UNUSED_PAD src0_sel:BYTE_2 src1_sel:DWORD
	v_fma_mix_f32 v4, v107, v15, v4 op_sel:[0,1,0] op_sel_hi:[1,1,0]
	v_cvt_f32_i32_e32 v10, v10
	v_fma_mixlo_f16 v4, v4, v29, 0 op_sel:[0,1,0] op_sel_hi:[0,1,0]
	v_add_f16_e32 v49, v49, v4
	v_sub_u32_sdwa v4, v20, v42 dst_sel:DWORD dst_unused:UNUSED_PAD src0_sel:BYTE_0 src1_sel:DWORD
	v_cvt_f32_i32_e32 v4, v4
	v_cvt_f16_f32_e32 v65, v11
	v_sub_u32_sdwa v11, v17, v41 dst_sel:DWORD dst_unused:UNUSED_PAD src0_sel:BYTE_3 src1_sel:DWORD
	v_cvt_f32_i32_e32 v11, v11
	v_cvt_f16_f32_e32 v54, v4
	v_sub_u32_sdwa v4, v16, v42 dst_sel:DWORD dst_unused:UNUSED_PAD src0_sel:BYTE_0 src1_sel:DWORD
	v_cvt_f32_i32_e32 v4, v4
	v_cvt_f16_f32_e32 v69, v5
	v_sub_u32_sdwa v5, v22, v40 dst_sel:DWORD dst_unused:UNUSED_PAD src0_sel:BYTE_1 src1_sel:DWORD
	v_cvt_f16_f32_e32 v70, v10
	v_cvt_f16_f32_e32 v60, v4
	v_sub_u32_sdwa v4, v21, v41 dst_sel:DWORD dst_unused:UNUSED_PAD src0_sel:BYTE_0 src1_sel:DWORD
	v_cvt_f32_i32_e32 v4, v4
	v_cvt_f32_i32_e32 v5, v5
	v_sub_u32_sdwa v10, v22, v40 dst_sel:DWORD dst_unused:UNUSED_PAD src0_sel:BYTE_2 src1_sel:DWORD
	v_cvt_f32_i32_e32 v10, v10
	v_cvt_f16_f32_e32 v62, v4
	v_sub_u32_sdwa v4, v17, v41 dst_sel:DWORD dst_unused:UNUSED_PAD src0_sel:BYTE_0 src1_sel:DWORD
	v_cvt_f32_i32_e32 v4, v4
	v_cvt_f16_f32_e32 v71, v11
	v_sub_u32_sdwa v11, v22, v40 dst_sel:DWORD dst_unused:UNUSED_PAD src0_sel:BYTE_3 src1_sel:DWORD
	v_cvt_f32_i32_e32 v11, v11
	v_cvt_f16_f32_e32 v68, v4
	v_sub_u32_sdwa v4, v22, v40 dst_sel:DWORD dst_unused:UNUSED_PAD src0_sel:BYTE_0 src1_sel:DWORD
	v_cvt_f32_i32_e32 v4, v4
	v_cvt_f16_f32_e32 v75, v5
	v_sub_u32_sdwa v5, v18, v40 dst_sel:DWORD dst_unused:UNUSED_PAD src0_sel:BYTE_1 src1_sel:DWORD
	v_cvt_f16_f32_e32 v76, v10
	v_cvt_f16_f32_e32 v74, v4
	v_sub_u32_sdwa v4, v18, v40 dst_sel:DWORD dst_unused:UNUSED_PAD src0_sel:BYTE_0 src1_sel:DWORD
	v_cvt_f32_i32_e32 v4, v4
	v_cvt_f32_i32_e32 v5, v5
	v_sub_u32_sdwa v10, v18, v40 dst_sel:DWORD dst_unused:UNUSED_PAD src0_sel:BYTE_2 src1_sel:DWORD
	v_cvt_f32_i32_e32 v10, v10
	v_cvt_f16_f32_e32 v78, v4
	v_sub_u32_sdwa v4, v23, v39 dst_sel:DWORD dst_unused:UNUSED_PAD src0_sel:BYTE_0 src1_sel:DWORD
	v_cvt_f32_i32_e32 v4, v4
	v_cvt_f16_f32_e32 v77, v11
	v_sub_u32_sdwa v11, v18, v40 dst_sel:DWORD dst_unused:UNUSED_PAD src0_sel:BYTE_3 src1_sel:DWORD
	v_cvt_f32_i32_e32 v11, v11
	v_cvt_f16_f32_e32 v82, v4
	v_sub_u32_sdwa v4, v19, v39 dst_sel:DWORD dst_unused:UNUSED_PAD src0_sel:BYTE_0 src1_sel:DWORD
	v_cvt_f32_i32_e32 v4, v4
	v_cvt_f16_f32_e32 v79, v5
	v_sub_u32_sdwa v5, v23, v39 dst_sel:DWORD dst_unused:UNUSED_PAD src0_sel:BYTE_1 src1_sel:DWORD
	v_cvt_f16_f32_e32 v80, v10
	v_cvt_f16_f32_e32 v90, v4
	s_waitcnt lgkmcnt(1)
	v_fma_mix_f32 v4, v54, v6, 0 op_sel_hi:[1,1,0]
	v_cvt_f32_i32_e32 v5, v5
	v_fma_mix_f32 v4, v55, v6, v4 op_sel:[0,1,0] op_sel_hi:[1,1,0]
	v_sub_u32_sdwa v10, v23, v39 dst_sel:DWORD dst_unused:UNUSED_PAD src0_sel:BYTE_2 src1_sel:DWORD
	v_fma_mix_f32 v4, v56, v7, v4 op_sel_hi:[1,1,0]
	v_cvt_f32_i32_e32 v10, v10
	v_fma_mix_f32 v4, v57, v7, v4 op_sel:[0,1,0] op_sel_hi:[1,1,0]
	v_cvt_f16_f32_e32 v81, v11
	v_fma_mix_f32 v4, v60, v8, v4 op_sel_hi:[1,1,0]
	v_sub_u32_sdwa v11, v23, v39 dst_sel:DWORD dst_unused:UNUSED_PAD src0_sel:BYTE_3 src1_sel:DWORD
	v_fma_mix_f32 v4, v61, v8, v4 op_sel:[0,1,0] op_sel_hi:[1,1,0]
	v_cvt_f32_i32_e32 v11, v11
	v_fma_mix_f32 v4, v58, v9, v4 op_sel_hi:[1,1,0]
	v_cvt_f16_f32_e32 v83, v5
	v_fma_mix_f32 v4, v59, v9, v4 op_sel:[0,1,0] op_sel_hi:[1,1,0]
	v_sub_u32_sdwa v5, v19, v39 dst_sel:DWORD dst_unused:UNUSED_PAD src0_sel:BYTE_1 src1_sel:DWORD
	v_fma_mixlo_f16 v4, v4, v28, 0 op_sel_hi:[0,1,0]
	v_add_f16_e32 v86, v86, v4
	v_fma_mix_f32 v4, v62, v6, 0 op_sel_hi:[1,1,0]
	v_cvt_f16_f32_e32 v84, v10
	v_fma_mix_f32 v4, v63, v6, v4 op_sel:[0,1,0] op_sel_hi:[1,1,0]
	v_cvt_f32_i32_e32 v5, v5
	v_fma_mix_f32 v4, v64, v7, v4 op_sel_hi:[1,1,0]
	v_sub_u32_sdwa v10, v19, v39 dst_sel:DWORD dst_unused:UNUSED_PAD src0_sel:BYTE_2 src1_sel:DWORD
	v_fma_mix_f32 v4, v65, v7, v4 op_sel:[0,1,0] op_sel_hi:[1,1,0]
	v_cvt_f32_i32_e32 v10, v10
	v_fma_mix_f32 v4, v68, v8, v4 op_sel_hi:[1,1,0]
	v_cvt_f16_f32_e32 v85, v11
	v_fma_mix_f32 v4, v69, v8, v4 op_sel:[0,1,0] op_sel_hi:[1,1,0]
	v_sub_u32_sdwa v11, v19, v39 dst_sel:DWORD dst_unused:UNUSED_PAD src0_sel:BYTE_3 src1_sel:DWORD
	v_fma_mix_f32 v4, v70, v9, v4 op_sel_hi:[1,1,0]
	v_cvt_f32_i32_e32 v11, v11
	v_fma_mix_f32 v4, v71, v9, v4 op_sel:[0,1,0] op_sel_hi:[1,1,0]
	v_cvt_f16_f32_e32 v91, v5
	v_fma_mixlo_f16 v4, v4, v28, 0 op_sel:[0,1,0] op_sel_hi:[0,1,0]
	v_add_f16_e32 v87, v87, v4
	v_fma_mix_f32 v4, v74, v6, 0 op_sel_hi:[1,1,0]
	v_cvt_f16_f32_e32 v92, v10
	v_fma_mix_f32 v4, v75, v6, v4 op_sel:[0,1,0] op_sel_hi:[1,1,0]
	v_cvt_f16_f32_e32 v93, v11
	v_fma_mix_f32 v4, v76, v7, v4 op_sel_hi:[1,1,0]
	ds_read_b128 v[16:19], v43 offset:544
	v_fma_mix_f32 v4, v77, v7, v4 op_sel:[0,1,0] op_sel_hi:[1,1,0]
	global_load_dwordx4 v[102:105], v[24:25], off
	v_fma_mix_f32 v4, v78, v8, v4 op_sel_hi:[1,1,0]
	v_lshl_add_u64 v[24:25], v[24:25], 0, s[2:3]
	v_fma_mix_f32 v4, v79, v8, v4 op_sel:[0,1,0] op_sel_hi:[1,1,0]
	global_load_dwordx4 v[106:109], v[24:25], off
	v_fma_mix_f32 v4, v80, v9, v4 op_sel_hi:[1,1,0]
	s_nop 0
	v_fma_mix_f32 v4, v81, v9, v4 op_sel:[0,1,0] op_sel_hi:[1,1,0]
	s_nop 0
	v_fma_mixlo_f16 v4, v4, v29, 0 op_sel_hi:[0,1,0]
	v_add_f16_e32 v88, v88, v4
	v_fma_mix_f32 v4, v82, v6, 0 op_sel_hi:[1,1,0]
	s_nop 0
	v_fma_mix_f32 v4, v83, v6, v4 op_sel:[0,1,0] op_sel_hi:[1,1,0]
	s_nop 0
	v_fma_mix_f32 v4, v84, v7, v4 op_sel_hi:[1,1,0]
	s_nop 0
	v_fma_mix_f32 v4, v85, v7, v4 op_sel:[0,1,0] op_sel_hi:[1,1,0]
	s_nop 0
	;; [unrolled: 4-line block ×3, first 2 shown]
	v_fma_mix_f32 v8, v92, v9, v4 op_sel_hi:[1,1,0]
	ds_read_b128 v[4:7], v43 offset:288
	v_fma_mix_f32 v8, v93, v9, v8 op_sel:[0,1,0] op_sel_hi:[1,1,0]
	s_nop 0
	v_fma_mixlo_f16 v8, v8, v29, 0 op_sel:[0,1,0] op_sel_hi:[0,1,0]
	v_add_f16_e32 v89, v89, v8
	ds_read_b128 v[8:11], v43 offset:304
	s_waitcnt lgkmcnt(1)
	v_fma_mix_f32 v12, v54, v4, 0 op_sel_hi:[1,1,0]
	s_nop 0
	v_fma_mix_f32 v12, v55, v4, v12 op_sel:[0,1,0] op_sel_hi:[1,1,0]
	s_nop 0
	v_fma_mix_f32 v12, v56, v5, v12 op_sel_hi:[1,1,0]
	s_nop 0
	v_fma_mix_f32 v12, v57, v5, v12 op_sel:[0,1,0] op_sel_hi:[1,1,0]
	s_nop 0
	;; [unrolled: 4-line block ×4, first 2 shown]
	v_fma_mixlo_f16 v12, v12, v28, 0 op_sel_hi:[0,1,0]
	v_add_f16_e32 v94, v51, v12
	v_fma_mix_f32 v12, v62, v4, 0 op_sel_hi:[1,1,0]
	s_nop 0
	v_fma_mix_f32 v12, v63, v4, v12 op_sel:[0,1,0] op_sel_hi:[1,1,0]
	s_nop 0
	v_fma_mix_f32 v12, v64, v5, v12 op_sel_hi:[1,1,0]
	s_nop 0
	v_fma_mix_f32 v12, v65, v5, v12 op_sel:[0,1,0] op_sel_hi:[1,1,0]
	s_nop 0
	v_fma_mix_f32 v12, v68, v6, v12 op_sel_hi:[1,1,0]
	s_nop 0
	v_fma_mix_f32 v12, v69, v6, v12 op_sel:[0,1,0] op_sel_hi:[1,1,0]
	s_nop 0
	v_fma_mix_f32 v12, v70, v7, v12 op_sel_hi:[1,1,0]
	s_nop 0
	v_fma_mix_f32 v12, v71, v7, v12 op_sel:[0,1,0] op_sel_hi:[1,1,0]
	s_nop 0
	v_fma_mixlo_f16 v12, v12, v28, 0 op_sel:[0,1,0] op_sel_hi:[0,1,0]
	v_add_f16_e32 v52, v52, v12
	v_fma_mix_f32 v12, v74, v4, 0 op_sel_hi:[1,1,0]
	s_nop 0
	v_fma_mix_f32 v12, v75, v4, v12 op_sel:[0,1,0] op_sel_hi:[1,1,0]
	s_nop 0
	v_fma_mix_f32 v12, v76, v5, v12 op_sel_hi:[1,1,0]
	s_nop 0
	v_fma_mix_f32 v12, v77, v5, v12 op_sel:[0,1,0] op_sel_hi:[1,1,0]
	s_nop 0
	;; [unrolled: 4-line block ×4, first 2 shown]
	v_fma_mixlo_f16 v12, v12, v29, 0 op_sel_hi:[0,1,0]
	v_add_f16_e32 v51, v53, v12
	v_fma_mix_f32 v12, v82, v4, 0 op_sel_hi:[1,1,0]
	s_nop 0
	v_fma_mix_f32 v4, v83, v4, v12 op_sel:[0,1,0] op_sel_hi:[1,1,0]
	ds_read_b128 v[12:15], v43 offset:560
	v_fma_mix_f32 v4, v84, v5, v4 op_sel_hi:[1,1,0]
	s_nop 0
	v_fma_mix_f32 v4, v85, v5, v4 op_sel:[0,1,0] op_sel_hi:[1,1,0]
	s_nop 0
	v_fma_mix_f32 v4, v90, v6, v4 op_sel_hi:[1,1,0]
	s_nop 0
	v_fma_mix_f32 v4, v91, v6, v4 op_sel:[0,1,0] op_sel_hi:[1,1,0]
	s_nop 0
	v_fma_mix_f32 v4, v92, v7, v4 op_sel_hi:[1,1,0]
	s_nop 0
	v_fma_mix_f32 v4, v93, v7, v4 op_sel:[0,1,0] op_sel_hi:[1,1,0]
	s_nop 0
	v_fma_mixlo_f16 v4, v4, v29, 0 op_sel:[0,1,0] op_sel_hi:[0,1,0]
	v_add_f16_e32 v50, v50, v4
	v_fma_mix_f32 v4, v54, v16, 0 op_sel_hi:[1,1,0]
	s_nop 0
	v_fma_mix_f32 v4, v55, v16, v4 op_sel:[0,1,0] op_sel_hi:[1,1,0]
	s_nop 0
	v_fma_mix_f32 v4, v56, v17, v4 op_sel_hi:[1,1,0]
	s_nop 0
	v_fma_mix_f32 v4, v57, v17, v4 op_sel:[0,1,0] op_sel_hi:[1,1,0]
	s_nop 0
	;; [unrolled: 4-line block ×4, first 2 shown]
	v_fma_mixlo_f16 v4, v4, v28, 0 op_sel_hi:[0,1,0]
	v_add_f16_e32 v95, v33, v4
	v_fma_mix_f32 v4, v62, v16, 0 op_sel_hi:[1,1,0]
	s_nop 0
	v_fma_mix_f32 v4, v63, v16, v4 op_sel:[0,1,0] op_sel_hi:[1,1,0]
	s_nop 0
	v_fma_mix_f32 v4, v64, v17, v4 op_sel_hi:[1,1,0]
	s_nop 0
	v_fma_mix_f32 v4, v65, v17, v4 op_sel:[0,1,0] op_sel_hi:[1,1,0]
	s_nop 0
	v_fma_mix_f32 v4, v68, v18, v4 op_sel_hi:[1,1,0]
	s_nop 0
	v_fma_mix_f32 v4, v69, v18, v4 op_sel:[0,1,0] op_sel_hi:[1,1,0]
	s_nop 0
	v_fma_mix_f32 v4, v70, v19, v4 op_sel_hi:[1,1,0]
	s_nop 0
	v_fma_mix_f32 v4, v71, v19, v4 op_sel:[0,1,0] op_sel_hi:[1,1,0]
	s_nop 0
	v_fma_mixlo_f16 v4, v4, v28, 0 op_sel:[0,1,0] op_sel_hi:[0,1,0]
	v_add_f16_e32 v96, v44, v4
	v_fma_mix_f32 v4, v74, v16, 0 op_sel_hi:[1,1,0]
	s_nop 0
	v_fma_mix_f32 v4, v75, v16, v4 op_sel:[0,1,0] op_sel_hi:[1,1,0]
	s_nop 0
	v_fma_mix_f32 v4, v76, v17, v4 op_sel_hi:[1,1,0]
	s_nop 0
	v_fma_mix_f32 v4, v77, v17, v4 op_sel:[0,1,0] op_sel_hi:[1,1,0]
	s_nop 0
	;; [unrolled: 4-line block ×4, first 2 shown]
	v_fma_mixlo_f16 v4, v4, v29, 0 op_sel_hi:[0,1,0]
	v_add_f16_e32 v44, v45, v4
	v_fma_mix_f32 v4, v82, v16, 0 op_sel_hi:[1,1,0]
	s_nop 0
	v_fma_mix_f32 v4, v83, v16, v4 op_sel:[0,1,0] op_sel_hi:[1,1,0]
	s_nop 0
	v_fma_mix_f32 v4, v84, v17, v4 op_sel_hi:[1,1,0]
	s_nop 0
	v_fma_mix_f32 v4, v85, v17, v4 op_sel:[0,1,0] op_sel_hi:[1,1,0]
	s_nop 0
	;; [unrolled: 4-line block ×3, first 2 shown]
	v_fma_mix_f32 v16, v92, v19, v4 op_sel_hi:[1,1,0]
	ds_read_b128 v[4:7], v43 offset:800
	v_fma_mix_f32 v16, v93, v19, v16 op_sel:[0,1,0] op_sel_hi:[1,1,0]
	s_nop 0
	v_fma_mixlo_f16 v16, v16, v29, 0 op_sel:[0,1,0] op_sel_hi:[0,1,0]
	v_add_f16_e32 v97, v32, v16
	ds_read_b128 v[16:19], v43 offset:816
	s_waitcnt lgkmcnt(1)
	v_fma_mix_f32 v20, v54, v4, 0 op_sel_hi:[1,1,0]
	s_nop 0
	v_fma_mix_f32 v20, v55, v4, v20 op_sel:[0,1,0] op_sel_hi:[1,1,0]
	s_nop 0
	v_fma_mix_f32 v20, v56, v5, v20 op_sel_hi:[1,1,0]
	s_nop 0
	v_fma_mix_f32 v20, v57, v5, v20 op_sel:[0,1,0] op_sel_hi:[1,1,0]
	s_nop 0
	;; [unrolled: 4-line block ×4, first 2 shown]
	v_fma_mixlo_f16 v20, v20, v28, 0 op_sel_hi:[0,1,0]
	v_add_f16_e32 v98, v73, v20
	v_fma_mix_f32 v20, v62, v4, 0 op_sel_hi:[1,1,0]
	s_nop 0
	v_fma_mix_f32 v20, v63, v4, v20 op_sel:[0,1,0] op_sel_hi:[1,1,0]
	s_nop 0
	v_fma_mix_f32 v20, v64, v5, v20 op_sel_hi:[1,1,0]
	s_nop 0
	v_fma_mix_f32 v20, v65, v5, v20 op_sel:[0,1,0] op_sel_hi:[1,1,0]
	s_nop 0
	;; [unrolled: 4-line block ×4, first 2 shown]
	v_fma_mixlo_f16 v20, v20, v28, 0 op_sel:[0,1,0] op_sel_hi:[0,1,0]
	v_add_f16_e32 v99, v72, v20
	v_fma_mix_f32 v20, v74, v4, 0 op_sel_hi:[1,1,0]
	s_nop 0
	v_fma_mix_f32 v20, v75, v4, v20 op_sel:[0,1,0] op_sel_hi:[1,1,0]
	s_nop 0
	v_fma_mix_f32 v20, v76, v5, v20 op_sel_hi:[1,1,0]
	s_nop 0
	v_fma_mix_f32 v20, v77, v5, v20 op_sel:[0,1,0] op_sel_hi:[1,1,0]
	s_nop 0
	;; [unrolled: 4-line block ×4, first 2 shown]
	v_fma_mixlo_f16 v32, v20, v29, 0 op_sel_hi:[0,1,0]
	v_fma_mix_f32 v20, v82, v4, 0 op_sel_hi:[1,1,0]
	v_add_f16_e32 v101, v66, v32
	v_fma_mix_f32 v4, v83, v4, v20 op_sel:[0,1,0] op_sel_hi:[1,1,0]
	ds_read_b128 v[20:23], v43 offset:1056
	v_fma_mix_f32 v4, v84, v5, v4 op_sel_hi:[1,1,0]
	s_nop 0
	v_fma_mix_f32 v4, v85, v5, v4 op_sel:[0,1,0] op_sel_hi:[1,1,0]
	s_nop 0
	v_fma_mix_f32 v4, v90, v6, v4 op_sel_hi:[1,1,0]
	s_nop 0
	v_fma_mix_f32 v4, v91, v6, v4 op_sel:[0,1,0] op_sel_hi:[1,1,0]
	s_nop 0
	;; [unrolled: 4-line block ×3, first 2 shown]
	v_fma_mixlo_f16 v4, v4, v29, 0 op_sel:[0,1,0] op_sel_hi:[0,1,0]
	v_add_f16_e32 v100, v67, v4
	ds_read_b128 v[4:7], v43 offset:1072
	s_waitcnt lgkmcnt(1)
	v_fma_mix_f32 v32, v54, v20, 0 op_sel_hi:[1,1,0]
	s_nop 0
	v_fma_mix_f32 v32, v55, v20, v32 op_sel:[0,1,0] op_sel_hi:[1,1,0]
	s_nop 0
	v_fma_mix_f32 v32, v56, v21, v32 op_sel_hi:[1,1,0]
	s_nop 0
	v_fma_mix_f32 v32, v57, v21, v32 op_sel:[0,1,0] op_sel_hi:[1,1,0]
	s_nop 0
	;; [unrolled: 4-line block ×4, first 2 shown]
	v_fma_mixlo_f16 v24, v24, v28, 0 op_sel_hi:[0,1,0]
	v_add_f16_e32 v43, v46, v24
	v_fma_mix_f32 v24, v62, v20, 0 op_sel_hi:[1,1,0]
	s_nop 0
	v_fma_mix_f32 v24, v63, v20, v24 op_sel:[0,1,0] op_sel_hi:[1,1,0]
	s_nop 0
	v_fma_mix_f32 v24, v64, v21, v24 op_sel_hi:[1,1,0]
	s_nop 0
	v_fma_mix_f32 v24, v65, v21, v24 op_sel:[0,1,0] op_sel_hi:[1,1,0]
	s_nop 0
	;; [unrolled: 4-line block ×4, first 2 shown]
	v_fma_mixlo_f16 v24, v24, v28, 0 op_sel:[0,1,0] op_sel_hi:[0,1,0]
	v_add_f16_e32 v45, v47, v24
	v_fma_mix_f32 v24, v74, v20, 0 op_sel_hi:[1,1,0]
	s_nop 0
	v_fma_mix_f32 v24, v75, v20, v24 op_sel:[0,1,0] op_sel_hi:[1,1,0]
	s_nop 0
	v_fma_mix_f32 v24, v76, v21, v24 op_sel_hi:[1,1,0]
	s_nop 0
	v_fma_mix_f32 v24, v77, v21, v24 op_sel:[0,1,0] op_sel_hi:[1,1,0]
	s_nop 0
	;; [unrolled: 4-line block ×4, first 2 shown]
	v_fma_mixlo_f16 v24, v24, v29, 0 op_sel_hi:[0,1,0]
	v_add_f16_e32 v32, v48, v24
	v_fma_mix_f32 v24, v82, v20, 0 op_sel_hi:[1,1,0]
	s_nop 0
	v_fma_mix_f32 v20, v83, v20, v24 op_sel:[0,1,0] op_sel_hi:[1,1,0]
	s_nop 0
	v_fma_mix_f32 v20, v84, v21, v20 op_sel_hi:[1,1,0]
	s_nop 0
	v_fma_mix_f32 v20, v85, v21, v20 op_sel:[0,1,0] op_sel_hi:[1,1,0]
	s_waitcnt vmcnt(1)
	v_sub_u32_sdwa v21, v102, v42 dst_sel:DWORD dst_unused:UNUSED_PAD src0_sel:BYTE_1 src1_sel:DWORD
	v_fma_mix_f32 v20, v90, v22, v20 op_sel_hi:[1,1,0]
	v_cvt_f32_i32_e32 v21, v21
	v_fma_mix_f32 v20, v91, v22, v20 op_sel:[0,1,0] op_sel_hi:[1,1,0]
	v_sub_u32_sdwa v22, v102, v42 dst_sel:DWORD dst_unused:UNUSED_PAD src0_sel:BYTE_2 src1_sel:DWORD
	v_fma_mix_f32 v20, v92, v23, v20 op_sel_hi:[1,1,0]
	v_cvt_f16_f32_e32 v47, v21
	v_fma_mix_f32 v20, v93, v23, v20 op_sel:[0,1,0] op_sel_hi:[1,1,0]
	v_sub_u32_sdwa v23, v102, v42 dst_sel:DWORD dst_unused:UNUSED_PAD src0_sel:BYTE_3 src1_sel:DWORD
	v_fma_mixlo_f16 v20, v20, v29, 0 op_sel:[0,1,0] op_sel_hi:[0,1,0]
	v_add_f16_e32 v33, v49, v20
	v_sub_u32_sdwa v20, v102, v42 dst_sel:DWORD dst_unused:UNUSED_PAD src0_sel:BYTE_0 src1_sel:DWORD
	v_cvt_f32_i32_e32 v20, v20
	s_waitcnt vmcnt(0)
	v_sub_u32_sdwa v21, v106, v42 dst_sel:DWORD dst_unused:UNUSED_PAD src0_sel:BYTE_1 src1_sel:DWORD
	v_cvt_f32_i32_e32 v22, v22
	v_cvt_f32_i32_e32 v23, v23
	v_cvt_f16_f32_e32 v46, v20
	v_sub_u32_sdwa v20, v106, v42 dst_sel:DWORD dst_unused:UNUSED_PAD src0_sel:BYTE_0 src1_sel:DWORD
	v_cvt_f32_i32_e32 v20, v20
	v_cvt_f32_i32_e32 v21, v21
	v_cvt_f16_f32_e32 v48, v22
	v_cvt_f16_f32_e32 v49, v23
	v_sub_u32_sdwa v22, v106, v42 dst_sel:DWORD dst_unused:UNUSED_PAD src0_sel:BYTE_2 src1_sel:DWORD
	v_sub_u32_sdwa v23, v106, v42 dst_sel:DWORD dst_unused:UNUSED_PAD src0_sel:BYTE_3 src1_sel:DWORD
	v_cvt_f16_f32_e32 v42, v20
	v_cvt_f16_f32_e32 v53, v21
	v_sub_u32_sdwa v20, v103, v41 dst_sel:DWORD dst_unused:UNUSED_PAD src0_sel:BYTE_0 src1_sel:DWORD
	v_sub_u32_sdwa v21, v103, v41 dst_sel:DWORD dst_unused:UNUSED_PAD src0_sel:BYTE_1 src1_sel:DWORD
	v_cvt_f32_i32_e32 v22, v22
	v_cvt_f32_i32_e32 v23, v23
	v_cvt_f32_i32_e32 v20, v20
	v_cvt_f32_i32_e32 v21, v21
	v_cvt_f16_f32_e32 v54, v22
	v_cvt_f16_f32_e32 v55, v23
	v_sub_u32_sdwa v22, v103, v41 dst_sel:DWORD dst_unused:UNUSED_PAD src0_sel:BYTE_2 src1_sel:DWORD
	v_sub_u32_sdwa v23, v103, v41 dst_sel:DWORD dst_unused:UNUSED_PAD src0_sel:BYTE_3 src1_sel:DWORD
	v_cvt_f16_f32_e32 v56, v20
	v_cvt_f16_f32_e32 v57, v21
	v_sub_u32_sdwa v20, v107, v41 dst_sel:DWORD dst_unused:UNUSED_PAD src0_sel:BYTE_0 src1_sel:DWORD
	v_sub_u32_sdwa v21, v107, v41 dst_sel:DWORD dst_unused:UNUSED_PAD src0_sel:BYTE_1 src1_sel:DWORD
	v_cvt_f32_i32_e32 v22, v22
	v_cvt_f32_i32_e32 v23, v23
	;; [unrolled: 12-line block ×6, first 2 shown]
	v_cvt_f32_i32_e32 v20, v20
	v_cvt_f32_i32_e32 v21, v21
	v_cvt_f16_f32_e32 v72, v22
	v_cvt_f16_f32_e32 v74, v23
	v_sub_u32_sdwa v22, v109, v39 dst_sel:DWORD dst_unused:UNUSED_PAD src0_sel:BYTE_2 src1_sel:DWORD
	v_sub_u32_sdwa v23, v109, v39 dst_sel:DWORD dst_unused:UNUSED_PAD src0_sel:BYTE_3 src1_sel:DWORD
	v_cvt_f16_f32_e32 v39, v20
	v_cvt_f16_f32_e32 v75, v21
	v_fma_mix_f32 v20, v46, v0, 0 op_sel_hi:[1,1,0]
	v_fma_mix_f32 v21, v56, v0, 0 op_sel_hi:[1,1,0]
	v_fma_mix_f32 v20, v47, v0, v20 op_sel:[0,1,0] op_sel_hi:[1,1,0]
	v_fma_mix_f32 v21, v57, v0, v21 op_sel:[0,1,0] op_sel_hi:[1,1,0]
	v_fma_mix_f32 v20, v48, v1, v20 op_sel_hi:[1,1,0]
	v_fma_mix_f32 v21, v58, v1, v21 op_sel_hi:[1,1,0]
	v_fma_mix_f32 v20, v49, v1, v20 op_sel:[0,1,0] op_sel_hi:[1,1,0]
	v_fma_mix_f32 v21, v59, v1, v21 op_sel:[0,1,0] op_sel_hi:[1,1,0]
	;; [unrolled: 4-line block ×4, first 2 shown]
	v_cvt_f32_i32_e32 v22, v22
	v_fma_mixlo_f16 v20, v20, v28, 0 op_sel_hi:[0,1,0]
	v_fma_mixlo_f16 v21, v21, v28, 0 op_sel:[0,1,0] op_sel_hi:[0,1,0]
	v_cvt_f32_i32_e32 v23, v23
	v_add_f16_e32 v20, v86, v20
	v_add_f16_e32 v21, v87, v21
	v_pack_b32_f16 v73, v20, v21
	v_fma_mix_f32 v20, v63, v0, 0 op_sel_hi:[1,1,0]
	v_fma_mix_f32 v21, v70, v0, 0 op_sel_hi:[1,1,0]
	v_fma_mix_f32 v20, v64, v0, v20 op_sel:[0,1,0] op_sel_hi:[1,1,0]
	v_fma_mix_f32 v0, v71, v0, v21 op_sel:[0,1,0] op_sel_hi:[1,1,0]
	v_cvt_f16_f32_e32 v76, v22
	v_fma_mix_f32 v20, v65, v1, v20 op_sel_hi:[1,1,0]
	v_fma_mix_f32 v0, v72, v1, v0 op_sel_hi:[1,1,0]
	v_cvt_f16_f32_e32 v77, v23
	v_fma_mix_f32 v20, v66, v1, v20 op_sel:[0,1,0] op_sel_hi:[1,1,0]
	v_fma_mix_f32 v0, v74, v1, v0 op_sel:[0,1,0] op_sel_hi:[1,1,0]
	v_fma_mix_f32 v20, v40, v2, v20 op_sel_hi:[1,1,0]
	v_fma_mix_f32 v0, v39, v2, v0 op_sel_hi:[1,1,0]
	v_fma_mix_f32 v20, v67, v2, v20 op_sel:[0,1,0] op_sel_hi:[1,1,0]
	v_fma_mix_f32 v0, v75, v2, v0 op_sel:[0,1,0] op_sel_hi:[1,1,0]
	v_fma_mix_f32 v20, v68, v3, v20 op_sel_hi:[1,1,0]
	v_fma_mix_f32 v0, v76, v3, v0 op_sel_hi:[1,1,0]
	v_fma_mix_f32 v20, v69, v3, v20 op_sel:[0,1,0] op_sel_hi:[1,1,0]
	v_fma_mix_f32 v0, v77, v3, v0 op_sel:[0,1,0] op_sel_hi:[1,1,0]
	v_fma_mixlo_f16 v20, v20, v29, 0 op_sel_hi:[0,1,0]
	v_fma_mixlo_f16 v0, v0, v29, 0 op_sel:[0,1,0] op_sel_hi:[0,1,0]
	v_add_f16_e32 v20, v88, v20
	v_add_f16_e32 v0, v89, v0
	v_pack_b32_f16 v25, v20, v0
	v_fma_mix_f32 v0, v46, v8, 0 op_sel_hi:[1,1,0]
	v_fma_mix_f32 v1, v56, v8, 0 op_sel_hi:[1,1,0]
	v_fma_mix_f32 v0, v47, v8, v0 op_sel:[0,1,0] op_sel_hi:[1,1,0]
	v_fma_mix_f32 v1, v57, v8, v1 op_sel:[0,1,0] op_sel_hi:[1,1,0]
	v_fma_mix_f32 v0, v48, v9, v0 op_sel_hi:[1,1,0]
	v_fma_mix_f32 v1, v58, v9, v1 op_sel_hi:[1,1,0]
	v_fma_mix_f32 v0, v49, v9, v0 op_sel:[0,1,0] op_sel_hi:[1,1,0]
	v_fma_mix_f32 v1, v59, v9, v1 op_sel:[0,1,0] op_sel_hi:[1,1,0]
	v_fma_mix_f32 v0, v42, v10, v0 op_sel_hi:[1,1,0]
	v_fma_mix_f32 v1, v41, v10, v1 op_sel_hi:[1,1,0]
	v_fma_mix_f32 v0, v53, v10, v0 op_sel:[0,1,0] op_sel_hi:[1,1,0]
	v_fma_mix_f32 v1, v60, v10, v1 op_sel:[0,1,0] op_sel_hi:[1,1,0]
	v_fma_mix_f32 v0, v54, v11, v0 op_sel_hi:[1,1,0]
	v_fma_mix_f32 v1, v61, v11, v1 op_sel_hi:[1,1,0]
	v_fma_mix_f32 v0, v55, v11, v0 op_sel:[0,1,0] op_sel_hi:[1,1,0]
	v_fma_mix_f32 v1, v62, v11, v1 op_sel:[0,1,0] op_sel_hi:[1,1,0]
	v_fma_mixlo_f16 v0, v0, v28, 0 op_sel_hi:[0,1,0]
	v_fma_mixlo_f16 v1, v1, v28, 0 op_sel:[0,1,0] op_sel_hi:[0,1,0]
	v_add_f16_e32 v0, v94, v0
	v_add_f16_e32 v1, v52, v1
	v_pack_b32_f16 v24, v0, v1
	v_fma_mix_f32 v0, v63, v8, 0 op_sel_hi:[1,1,0]
	v_fma_mix_f32 v1, v70, v8, 0 op_sel_hi:[1,1,0]
	v_fma_mix_f32 v0, v64, v8, v0 op_sel:[0,1,0] op_sel_hi:[1,1,0]
	v_fma_mix_f32 v1, v71, v8, v1 op_sel:[0,1,0] op_sel_hi:[1,1,0]
	v_fma_mix_f32 v0, v65, v9, v0 op_sel_hi:[1,1,0]
	v_fma_mix_f32 v1, v72, v9, v1 op_sel_hi:[1,1,0]
	;; [unrolled: 21-line block ×6, first 2 shown]
	v_fma_mix_f32 v0, v66, v17, v0 op_sel:[0,1,0] op_sel_hi:[1,1,0]
	v_fma_mix_f32 v1, v74, v17, v1 op_sel:[0,1,0] op_sel_hi:[1,1,0]
	v_fma_mix_f32 v0, v40, v18, v0 op_sel_hi:[1,1,0]
	v_fma_mix_f32 v1, v39, v18, v1 op_sel_hi:[1,1,0]
	v_fma_mix_f32 v0, v67, v18, v0 op_sel:[0,1,0] op_sel_hi:[1,1,0]
	v_fma_mix_f32 v1, v75, v18, v1 op_sel:[0,1,0] op_sel_hi:[1,1,0]
	v_fma_mix_f32 v0, v68, v19, v0 op_sel_hi:[1,1,0]
	v_fma_mix_f32 v1, v76, v19, v1 op_sel_hi:[1,1,0]
	v_fma_mix_f32 v0, v69, v19, v0 op_sel:[0,1,0] op_sel_hi:[1,1,0]
	v_fma_mix_f32 v1, v77, v19, v1 op_sel:[0,1,0] op_sel_hi:[1,1,0]
	v_fma_mixlo_f16 v0, v0, v29, 0 op_sel_hi:[0,1,0]
	v_fma_mixlo_f16 v1, v1, v29, 0 op_sel:[0,1,0] op_sel_hi:[0,1,0]
	v_add_f16_e32 v0, v101, v0
	v_add_f16_e32 v1, v100, v1
	v_pack_b32_f16 v44, v0, v1
	s_waitcnt lgkmcnt(0)
	v_fma_mix_f32 v0, v46, v4, 0 op_sel_hi:[1,1,0]
	v_fma_mix_f32 v1, v56, v4, 0 op_sel_hi:[1,1,0]
	v_fma_mix_f32 v0, v47, v4, v0 op_sel:[0,1,0] op_sel_hi:[1,1,0]
	v_fma_mix_f32 v1, v57, v4, v1 op_sel:[0,1,0] op_sel_hi:[1,1,0]
	v_fma_mix_f32 v0, v48, v5, v0 op_sel_hi:[1,1,0]
	v_fma_mix_f32 v1, v58, v5, v1 op_sel_hi:[1,1,0]
	v_fma_mix_f32 v0, v49, v5, v0 op_sel:[0,1,0] op_sel_hi:[1,1,0]
	v_fma_mix_f32 v1, v59, v5, v1 op_sel:[0,1,0] op_sel_hi:[1,1,0]
	;; [unrolled: 4-line block ×4, first 2 shown]
	v_fma_mixlo_f16 v0, v0, v28, 0 op_sel_hi:[0,1,0]
	v_fma_mixlo_f16 v1, v1, v28, 0 op_sel:[0,1,0] op_sel_hi:[0,1,0]
	v_add_f16_e32 v0, v43, v0
	v_add_f16_e32 v1, v45, v1
	v_pack_b32_f16 v46, v0, v1
	v_fma_mix_f32 v0, v63, v4, 0 op_sel_hi:[1,1,0]
	v_fma_mix_f32 v1, v70, v4, 0 op_sel_hi:[1,1,0]
	v_fma_mix_f32 v0, v64, v4, v0 op_sel:[0,1,0] op_sel_hi:[1,1,0]
	v_fma_mix_f32 v1, v71, v4, v1 op_sel:[0,1,0] op_sel_hi:[1,1,0]
	v_fma_mix_f32 v0, v65, v5, v0 op_sel_hi:[1,1,0]
	v_fma_mix_f32 v1, v72, v5, v1 op_sel_hi:[1,1,0]
	v_fma_mix_f32 v0, v66, v5, v0 op_sel:[0,1,0] op_sel_hi:[1,1,0]
	v_fma_mix_f32 v1, v74, v5, v1 op_sel:[0,1,0] op_sel_hi:[1,1,0]
	;; [unrolled: 4-line block ×4, first 2 shown]
	v_fma_mixlo_f16 v0, v0, v29, 0 op_sel_hi:[0,1,0]
	v_fma_mixlo_f16 v1, v1, v29, 0 op_sel:[0,1,0] op_sel_hi:[0,1,0]
	v_add_f16_e32 v0, v32, v0
	v_add_f16_e32 v1, v33, v1
	v_pack_b32_f16 v45, v0, v1
	s_cbranch_scc1 .LBB34_18
.LBB34_16:                              ; =>This Inner Loop Header: Depth=1
	s_cmp_lg_u32 s25, s7
	s_cbranch_scc1 .LBB34_15
; %bb.17:                               ;   in Loop: Header=BB34_16 Depth=1
	s_add_i32 s6, s6, 1
	s_mul_i32 s8, s6, s16
	s_ashr_i32 s9, s8, 31
	s_lshr_b32 s9, s9, 30
	s_add_i32 s9, s8, s9
	s_ashr_i32 s9, s9, 2
	v_add_u32_e32 v0, s9, v34
	v_ashrrev_i32_e32 v1, 31, v0
	v_lshl_add_u64 v[0:1], v[0:1], 2, s[10:11]
	global_load_dword v2, v[0:1], off
	v_add_u32_e32 v0, s8, v26
	v_ashrrev_i32_e32 v1, 31, v0
	v_lshl_add_u64 v[0:1], v[0:1], 1, s[12:13]
	global_load_dwordx2 v[28:29], v[0:1], off
	s_add_i32 s7, s7, s5
	s_waitcnt vmcnt(1)
	v_and_b32_e32 v27, 0xff, v2
	v_bfe_u32 v36, v2, 8, 8
	v_bfe_u32 v37, v2, 16, 8
	v_lshrrev_b32_e32 v38, 24, v2
	s_branch .LBB34_15
.LBB34_18:
	s_mul_i32 s24, s24, s16
	v_add_u32_e32 v0, s24, v26
	v_ashrrev_i32_e32 v1, 31, v0
	v_lshl_add_u64 v[2:3], v[0:1], 1, s[14:15]
	global_load_dword v5, v[2:3], off
	s_mov_b64 s[0:1], 0
.LBB34_19:                              ; =>This Inner Loop Header: Depth=1
	s_waitcnt vmcnt(0)
	v_pk_add_f16 v4, v73, v5
	global_atomic_cmpswap v1, v[2:3], v[4:5], off sc0
	s_waitcnt vmcnt(0)
	v_cmp_eq_u32_e32 vcc, v5, v1
	s_or_b64 s[0:1], vcc, s[0:1]
	v_mov_b32_e32 v5, v1
	s_andn2_b64 exec, exec, s[0:1]
	s_cbranch_execnz .LBB34_19
; %bb.20:
	s_or_b64 exec, exec, s[0:1]
	global_load_dword v5, v[2:3], off offset:4
	s_mov_b64 s[0:1], 0
.LBB34_21:                              ; =>This Inner Loop Header: Depth=1
	s_waitcnt vmcnt(0)
	v_pk_add_f16 v4, v25, v5
	global_atomic_cmpswap v1, v[2:3], v[4:5], off offset:4 sc0
	s_waitcnt vmcnt(0)
	v_cmp_eq_u32_e32 vcc, v5, v1
	s_or_b64 s[0:1], vcc, s[0:1]
	v_mov_b32_e32 v5, v1
	s_andn2_b64 exec, exec, s[0:1]
	s_cbranch_execnz .LBB34_21
; %bb.22:
	s_or_b64 exec, exec, s[0:1]
	v_add_u32_e32 v0, s16, v0
	v_ashrrev_i32_e32 v1, 31, v0
	v_lshl_add_u64 v[2:3], v[0:1], 1, s[14:15]
	global_load_dword v5, v[2:3], off
	s_mov_b64 s[0:1], 0
.LBB34_23:                              ; =>This Inner Loop Header: Depth=1
	s_waitcnt vmcnt(0)
	v_pk_add_f16 v4, v24, v5
	global_atomic_cmpswap v1, v[2:3], v[4:5], off sc0
	s_waitcnt vmcnt(0)
	v_cmp_eq_u32_e32 vcc, v5, v1
	s_or_b64 s[0:1], vcc, s[0:1]
	v_mov_b32_e32 v5, v1
	s_andn2_b64 exec, exec, s[0:1]
	s_cbranch_execnz .LBB34_23
; %bb.24:
	s_or_b64 exec, exec, s[0:1]
	global_load_dword v5, v[2:3], off offset:4
	s_mov_b64 s[0:1], 0
.LBB34_25:                              ; =>This Inner Loop Header: Depth=1
	s_waitcnt vmcnt(0)
	v_pk_add_f16 v4, v23, v5
	global_atomic_cmpswap v1, v[2:3], v[4:5], off offset:4 sc0
	s_waitcnt vmcnt(0)
	v_cmp_eq_u32_e32 vcc, v5, v1
	s_or_b64 s[0:1], vcc, s[0:1]
	v_mov_b32_e32 v5, v1
	s_andn2_b64 exec, exec, s[0:1]
	s_cbranch_execnz .LBB34_25
; %bb.26:
	s_or_b64 exec, exec, s[0:1]
	;; [unrolled: 31-line block ×4, first 2 shown]
	v_add_u32_e32 v0, s16, v0
	v_ashrrev_i32_e32 v1, 31, v0
	v_lshl_add_u64 v[0:1], v[0:1], 1, s[14:15]
	global_load_dword v3, v[0:1], off
	s_mov_b64 s[0:1], 0
.LBB34_35:                              ; =>This Inner Loop Header: Depth=1
	s_waitcnt vmcnt(0)
	v_pk_add_f16 v2, v46, v3
	global_atomic_cmpswap v2, v[0:1], v[2:3], off sc0
	s_waitcnt vmcnt(0)
	v_cmp_eq_u32_e32 vcc, v3, v2
	s_or_b64 s[0:1], vcc, s[0:1]
	v_mov_b32_e32 v3, v2
	s_andn2_b64 exec, exec, s[0:1]
	s_cbranch_execnz .LBB34_35
; %bb.36:
	s_or_b64 exec, exec, s[0:1]
	global_load_dword v3, v[0:1], off offset:4
	s_mov_b64 s[0:1], 0
.LBB34_37:                              ; =>This Inner Loop Header: Depth=1
	s_waitcnt vmcnt(0)
	v_pk_add_f16 v2, v45, v3
	global_atomic_cmpswap v2, v[0:1], v[2:3], off offset:4 sc0
	s_waitcnt vmcnt(0)
	v_cmp_eq_u32_e32 vcc, v3, v2
	s_or_b64 s[0:1], vcc, s[0:1]
	v_mov_b32_e32 v3, v2
	s_andn2_b64 exec, exec, s[0:1]
	s_cbranch_execnz .LBB34_37
.LBB34_38:
	s_endpgm
	.section	.rodata,"a",@progbits
	.p2align	6, 0x0
	.amdhsa_kernel _ZN4vllm4gptq33gemm_half_q_half_gptq_8bit_kernelILb1ELi5EEEvPK6__halfPKjS6_S4_PS2_iiiibPKi
		.amdhsa_group_segment_fixed_size 1280
		.amdhsa_private_segment_fixed_size 0
		.amdhsa_kernarg_size 72
		.amdhsa_user_sgpr_count 2
		.amdhsa_user_sgpr_dispatch_ptr 0
		.amdhsa_user_sgpr_queue_ptr 0
		.amdhsa_user_sgpr_kernarg_segment_ptr 1
		.amdhsa_user_sgpr_dispatch_id 0
		.amdhsa_user_sgpr_kernarg_preload_length 0
		.amdhsa_user_sgpr_kernarg_preload_offset 0
		.amdhsa_user_sgpr_private_segment_size 0
		.amdhsa_uses_dynamic_stack 0
		.amdhsa_enable_private_segment 0
		.amdhsa_system_sgpr_workgroup_id_x 1
		.amdhsa_system_sgpr_workgroup_id_y 1
		.amdhsa_system_sgpr_workgroup_id_z 1
		.amdhsa_system_sgpr_workgroup_info 0
		.amdhsa_system_vgpr_workitem_id 0
		.amdhsa_next_free_vgpr 110
		.amdhsa_next_free_sgpr 27
		.amdhsa_accum_offset 112
		.amdhsa_reserve_vcc 1
		.amdhsa_float_round_mode_32 0
		.amdhsa_float_round_mode_16_64 0
		.amdhsa_float_denorm_mode_32 3
		.amdhsa_float_denorm_mode_16_64 3
		.amdhsa_dx10_clamp 1
		.amdhsa_ieee_mode 1
		.amdhsa_fp16_overflow 0
		.amdhsa_tg_split 0
		.amdhsa_exception_fp_ieee_invalid_op 0
		.amdhsa_exception_fp_denorm_src 0
		.amdhsa_exception_fp_ieee_div_zero 0
		.amdhsa_exception_fp_ieee_overflow 0
		.amdhsa_exception_fp_ieee_underflow 0
		.amdhsa_exception_fp_ieee_inexact 0
		.amdhsa_exception_int_div_zero 0
	.end_amdhsa_kernel
	.section	.text._ZN4vllm4gptq33gemm_half_q_half_gptq_8bit_kernelILb1ELi5EEEvPK6__halfPKjS6_S4_PS2_iiiibPKi,"axG",@progbits,_ZN4vllm4gptq33gemm_half_q_half_gptq_8bit_kernelILb1ELi5EEEvPK6__halfPKjS6_S4_PS2_iiiibPKi,comdat
.Lfunc_end34:
	.size	_ZN4vllm4gptq33gemm_half_q_half_gptq_8bit_kernelILb1ELi5EEEvPK6__halfPKjS6_S4_PS2_iiiibPKi, .Lfunc_end34-_ZN4vllm4gptq33gemm_half_q_half_gptq_8bit_kernelILb1ELi5EEEvPK6__halfPKjS6_S4_PS2_iiiibPKi
                                        ; -- End function
	.set _ZN4vllm4gptq33gemm_half_q_half_gptq_8bit_kernelILb1ELi5EEEvPK6__halfPKjS6_S4_PS2_iiiibPKi.num_vgpr, 110
	.set _ZN4vllm4gptq33gemm_half_q_half_gptq_8bit_kernelILb1ELi5EEEvPK6__halfPKjS6_S4_PS2_iiiibPKi.num_agpr, 0
	.set _ZN4vllm4gptq33gemm_half_q_half_gptq_8bit_kernelILb1ELi5EEEvPK6__halfPKjS6_S4_PS2_iiiibPKi.numbered_sgpr, 27
	.set _ZN4vllm4gptq33gemm_half_q_half_gptq_8bit_kernelILb1ELi5EEEvPK6__halfPKjS6_S4_PS2_iiiibPKi.num_named_barrier, 0
	.set _ZN4vllm4gptq33gemm_half_q_half_gptq_8bit_kernelILb1ELi5EEEvPK6__halfPKjS6_S4_PS2_iiiibPKi.private_seg_size, 0
	.set _ZN4vllm4gptq33gemm_half_q_half_gptq_8bit_kernelILb1ELi5EEEvPK6__halfPKjS6_S4_PS2_iiiibPKi.uses_vcc, 1
	.set _ZN4vllm4gptq33gemm_half_q_half_gptq_8bit_kernelILb1ELi5EEEvPK6__halfPKjS6_S4_PS2_iiiibPKi.uses_flat_scratch, 0
	.set _ZN4vllm4gptq33gemm_half_q_half_gptq_8bit_kernelILb1ELi5EEEvPK6__halfPKjS6_S4_PS2_iiiibPKi.has_dyn_sized_stack, 0
	.set _ZN4vllm4gptq33gemm_half_q_half_gptq_8bit_kernelILb1ELi5EEEvPK6__halfPKjS6_S4_PS2_iiiibPKi.has_recursion, 0
	.set _ZN4vllm4gptq33gemm_half_q_half_gptq_8bit_kernelILb1ELi5EEEvPK6__halfPKjS6_S4_PS2_iiiibPKi.has_indirect_call, 0
	.section	.AMDGPU.csdata,"",@progbits
; Kernel info:
; codeLenInByte = 11844
; TotalNumSgprs: 33
; NumVgprs: 110
; NumAgprs: 0
; TotalNumVgprs: 110
; ScratchSize: 0
; MemoryBound: 0
; FloatMode: 240
; IeeeMode: 1
; LDSByteSize: 1280 bytes/workgroup (compile time only)
; SGPRBlocks: 4
; VGPRBlocks: 13
; NumSGPRsForWavesPerEU: 33
; NumVGPRsForWavesPerEU: 110
; AccumOffset: 112
; Occupancy: 4
; WaveLimiterHint : 0
; COMPUTE_PGM_RSRC2:SCRATCH_EN: 0
; COMPUTE_PGM_RSRC2:USER_SGPR: 2
; COMPUTE_PGM_RSRC2:TRAP_HANDLER: 0
; COMPUTE_PGM_RSRC2:TGID_X_EN: 1
; COMPUTE_PGM_RSRC2:TGID_Y_EN: 1
; COMPUTE_PGM_RSRC2:TGID_Z_EN: 1
; COMPUTE_PGM_RSRC2:TIDIG_COMP_CNT: 0
; COMPUTE_PGM_RSRC3_GFX90A:ACCUM_OFFSET: 27
; COMPUTE_PGM_RSRC3_GFX90A:TG_SPLIT: 0
	.section	.text._ZN4vllm4gptq33gemm_half_q_half_gptq_2bit_kernelILb1ELi6EEEvPK6__halfPKjS6_S4_PS2_iiiibPKi,"axG",@progbits,_ZN4vllm4gptq33gemm_half_q_half_gptq_2bit_kernelILb1ELi6EEEvPK6__halfPKjS6_S4_PS2_iiiibPKi,comdat
	.protected	_ZN4vllm4gptq33gemm_half_q_half_gptq_2bit_kernelILb1ELi6EEEvPK6__halfPKjS6_S4_PS2_iiiibPKi ; -- Begin function _ZN4vllm4gptq33gemm_half_q_half_gptq_2bit_kernelILb1ELi6EEEvPK6__halfPKjS6_S4_PS2_iiiibPKi
	.globl	_ZN4vllm4gptq33gemm_half_q_half_gptq_2bit_kernelILb1ELi6EEEvPK6__halfPKjS6_S4_PS2_iiiibPKi
	.p2align	8
	.type	_ZN4vllm4gptq33gemm_half_q_half_gptq_2bit_kernelILb1ELi6EEEvPK6__halfPKjS6_S4_PS2_iiiibPKi,@function
_ZN4vllm4gptq33gemm_half_q_half_gptq_2bit_kernelILb1ELi6EEEvPK6__halfPKjS6_S4_PS2_iiiibPKi: ; @_ZN4vllm4gptq33gemm_half_q_half_gptq_2bit_kernelILb1ELi6EEEvPK6__halfPKjS6_S4_PS2_iiiibPKi
; %bb.0:
	s_load_dwordx8 s[8:15], s[0:1], 0x8
	s_load_dwordx4 s[16:19], s[0:1], 0x2c
	s_lshl_b32 s24, s4, 7
	s_add_i32 s4, s24, 0x80
	v_cvt_f64_u32_e32 v[2:3], s4
	s_mul_i32 s3, s3, 6
	s_waitcnt lgkmcnt(0)
	v_cvt_f64_i32_e32 v[4:5], s17
	v_min_f64 v[2:3], v[2:3], v[4:5]
	v_cvt_i32_f64_e32 v1, v[2:3]
	v_add_u32_e32 v2, s24, v0
	v_readfirstlane_b32 s25, v1
	v_cmp_lt_u32_e32 vcc, v2, v1
	s_and_saveexec_b64 s[4:5], vcc
	s_cbranch_execz .LBB35_14
; %bb.1:
	s_load_dwordx2 s[22:23], s[0:1], 0x40
	s_load_dwordx2 s[6:7], s[0:1], 0x0
	v_mov_b32_e32 v3, 0
	v_mov_b64_e32 v[6:7], v[2:3]
	s_waitcnt lgkmcnt(0)
	s_cmp_lg_u64 s[22:23], 0
	s_cselect_b64 s[20:21], -1, 0
	s_cmp_eq_u64 s[22:23], 0
	v_lshl_add_u64 v[4:5], v[2:3], 2, s[22:23]
	s_cbranch_scc1 .LBB35_3
; %bb.2:
	global_load_dword v6, v[4:5], off
	s_waitcnt vmcnt(0)
	v_ashrrev_i32_e32 v7, 31, v6
.LBB35_3:
	s_mul_i32 s22, s3, s17
	s_ashr_i32 s23, s22, 31
	s_lshl_b64 s[0:1], s[22:23], 1
	s_add_u32 s0, s6, s0
	s_addc_u32 s1, s7, s1
	v_lshl_add_u64 v[6:7], v[6:7], 1, s[0:1]
	global_load_ushort v6, v[6:7], off
	v_lshlrev_b32_e32 v1, 1, v0
	v_cndmask_b32_e64 v7, 0, 1, s[20:21]
	v_cmp_ne_u32_e64 s[0:1], 1, v7
	s_andn2_b64 vcc, exec, s[20:21]
	s_waitcnt vmcnt(0)
	ds_write_b16 v1, v6
	v_mov_b64_e32 v[6:7], v[2:3]
	s_cbranch_vccnz .LBB35_5
; %bb.4:
	global_load_dword v6, v[4:5], off
	s_waitcnt vmcnt(0)
	v_ashrrev_i32_e32 v7, 31, v6
.LBB35_5:
	s_add_i32 s20, s22, s17
	s_ashr_i32 s21, s20, 31
	s_lshl_b64 s[22:23], s[20:21], 1
	s_add_u32 s22, s6, s22
	s_addc_u32 s23, s7, s23
	v_lshl_add_u64 v[6:7], v[6:7], 1, s[22:23]
	global_load_ushort v6, v[6:7], off
	s_and_b64 vcc, exec, s[0:1]
	s_waitcnt vmcnt(0)
	ds_write_b16 v1, v6 offset:256
	v_mov_b64_e32 v[6:7], v[2:3]
	s_cbranch_vccnz .LBB35_7
; %bb.6:
	global_load_dword v6, v[4:5], off
	s_waitcnt vmcnt(0)
	v_ashrrev_i32_e32 v7, 31, v6
.LBB35_7:
	s_add_i32 s20, s20, s17
	s_ashr_i32 s21, s20, 31
	s_lshl_b64 s[22:23], s[20:21], 1
	s_add_u32 s22, s6, s22
	s_addc_u32 s23, s7, s23
	v_lshl_add_u64 v[6:7], v[6:7], 1, s[22:23]
	global_load_ushort v6, v[6:7], off
	s_and_b64 vcc, exec, s[0:1]
	s_waitcnt vmcnt(0)
	ds_write_b16 v1, v6 offset:512
	;; [unrolled: 17-line block ×4, first 2 shown]
	s_cbranch_vccnz .LBB35_13
; %bb.12:
	global_load_dword v2, v[4:5], off
	s_waitcnt vmcnt(0)
	v_ashrrev_i32_e32 v3, 31, v2
.LBB35_13:
	s_add_i32 s0, s20, s17
	s_ashr_i32 s1, s0, 31
	s_lshl_b64 s[0:1], s[0:1], 1
	s_add_u32 s0, s6, s0
	s_addc_u32 s1, s7, s1
	v_lshl_add_u64 v[2:3], v[2:3], 1, s[0:1]
	global_load_ushort v2, v[2:3], off
	s_waitcnt vmcnt(0)
	ds_write_b16 v1, v2 offset:1280
.LBB35_14:
	s_or_b64 exec, exec, s[4:5]
	v_lshlrev_b32_e32 v1, 2, v0
	v_lshl_add_u32 v4, s2, 9, v1
	v_cmp_gt_i32_e32 vcc, s16, v4
	s_and_saveexec_b64 s[0:1], vcc
	s_cbranch_execz .LBB35_44
; %bb.15:
	s_abs_i32 s0, s18
	v_cvt_f32_u32_e32 v1, s0
	s_mov_b32 s2, 0
	v_mov_b32_e32 v28, 0
	v_mov_b32_e32 v26, 0
	v_rcp_iflag_f32_e32 v1, v1
	v_mov_b32_e32 v25, 0
	v_mov_b32_e32 v24, 0
	s_cmp_ge_i32 s24, s25
	v_mul_f32_e32 v1, 0x4f7ffffe, v1
	v_cvt_u32_f32_e32 v1, v1
	v_mov_b32_e32 v23, 0
	v_mov_b32_e32 v22, 0
	;; [unrolled: 1-line block ×3, first 2 shown]
	v_readfirstlane_b32 s1, v1
	v_mov_b32_e32 v20, 0
	v_mov_b32_e32 v19, 0
	;; [unrolled: 1-line block ×5, first 2 shown]
	s_waitcnt lgkmcnt(0)
	s_barrier
	s_cbranch_scc1 .LBB35_20
; %bb.16:
	s_sub_i32 s7, 0, s0
	s_mul_i32 s7, s7, s1
	s_mul_hi_u32 s7, s1, s7
	s_abs_i32 s6, s17
	s_add_i32 s1, s1, s7
	s_ashr_i32 s4, s17, 31
	s_ashr_i32 s5, s18, 31
	s_mul_hi_u32 s1, s6, s1
	s_xor_b32 s4, s4, s5
	s_mul_i32 s5, s1, s0
	s_sub_i32 s5, s6, s5
	s_add_i32 s6, s1, 1
	s_sub_i32 s7, s5, s0
	s_cmp_ge_u32 s5, s0
	s_cselect_b32 s1, s6, s1
	s_cselect_b32 s5, s7, s5
	s_add_i32 s6, s1, 1
	s_cmp_ge_u32 s5, s0
	s_cselect_b32 s0, s6, s1
	s_xor_b32 s0, s0, s4
	s_sub_i32 s4, s0, s4
	v_cvt_f32_u32_e32 v1, s4
	s_bitcmp1_b32 s19, 0
	s_cselect_b64 s[0:1], -1, 0
	s_sub_i32 s5, 0, s4
	v_rcp_iflag_f32_e32 v1, v1
	s_xor_b64 s[0:1], s[0:1], -1
	v_ashrrev_i32_e32 v5, 31, v4
	v_lshrrev_b32_e32 v2, 28, v5
	v_mul_f32_e32 v1, 0x4f7ffffe, v1
	v_cvt_u32_f32_e32 v1, v1
	v_add_u32_e32 v2, v4, v2
	v_ashrrev_i32_e32 v27, 4, v2
	v_cndmask_b32_e64 v31, 0, 1, s[0:1]
	v_readfirstlane_b32 s6, v1
	s_mul_i32 s5, s5, s6
	s_mul_hi_u32 s5, s6, s5
	s_add_i32 s6, s6, s5
	s_mul_hi_u32 s5, s24, s6
	s_mul_i32 s6, s5, s4
	s_sub_i32 s6, s24, s6
	s_add_i32 s7, s5, 1
	s_sub_i32 s17, s6, s4
	s_cmp_ge_u32 s6, s4
	s_cselect_b32 s5, s7, s5
	s_cselect_b32 s6, s17, s6
	s_add_i32 s7, s5, 1
	s_cmp_ge_u32 s6, s4
	s_cselect_b32 s5, s7, s5
	s_mul_i32 s6, s5, s16
	s_ashr_i32 s7, s6, 31
	s_lshr_b32 s7, s7, 28
	s_add_i32 s7, s6, s7
	s_ashr_i32 s7, s7, 4
	v_add_u32_e32 v2, s7, v27
	v_ashrrev_i32_e32 v3, 31, v2
	v_lshl_add_u64 v[2:3], v[2:3], 2, s[10:11]
	global_load_dword v10, v[2:3], off
	v_add_u32_e32 v2, s6, v4
	v_ashrrev_i32_e32 v3, 31, v2
	v_lshl_add_u64 v[2:3], v[2:3], 1, s[12:13]
	global_load_dwordx2 v[6:7], v[2:3], off
	s_lshr_b32 s0, s24, 4
	s_mul_i32 s0, s16, s0
	s_ashr_i32 s1, s0, 31
	s_add_i32 s21, s4, s24
	s_ashr_i32 s17, s16, 31
	s_lshl_b64 s[0:1], s[0:1], 2
	s_add_u32 s8, s8, s0
	s_addc_u32 s9, s9, s1
	v_lshlrev_b32_e32 v2, 3, v0
	v_lshl_add_u64 v[0:1], v[4:5], 2, s[8:9]
	v_and_b32_e32 v30, 24, v2
	v_lshl_add_u64 v[8:9], v[0:1], 0, 8
	v_mov_b32_e32 v16, 0
	s_mov_b32 s6, 0x10001
	v_mov_b32_e32 v29, 0xe400e400
	s_movk_i32 s7, 0x3400
	s_movk_i32 s18, 0x2c00
	;; [unrolled: 1-line block ×3, first 2 shown]
	s_mov_b32 s20, 0x7060302
	v_mov_b32_e32 v17, 0
	v_mov_b32_e32 v18, 0
	;; [unrolled: 1-line block ×10, first 2 shown]
	s_lshl_b64 s[0:1], s[16:17], 2
	v_mov_b32_e32 v28, 0
	s_waitcnt vmcnt(1)
	v_lshrrev_b32_e32 v0, v2, v10
	v_bfe_u32 v5, v10, v30, 2
	v_bfe_u32 v32, v0, 2, 2
	;; [unrolled: 1-line block ×4, first 2 shown]
	s_branch .LBB35_18
.LBB35_17:                              ;   in Loop: Header=BB35_18 Depth=1
	global_load_dwordx4 v[0:3], v[8:9], off offset:-8
	v_add_u32_e32 v10, v5, v31
	v_add_u32_e32 v11, v32, v31
	;; [unrolled: 1-line block ×4, first 2 shown]
	v_cvt_f32_i32_e32 v35, v10
	v_cvt_f32_i32_e32 v37, v11
	;; [unrolled: 1-line block ×4, first 2 shown]
	v_and_b32_e32 v36, 0x1bff, v10
	v_and_b32_e32 v44, 0x1bff, v13
	v_mad_u32_u24 v46, v36, s6, v29
	v_mad_u32_u24 v55, v44, s6, v29
	v_cvt_f16_f32_e32 v35, v35
	v_cvt_f16_f32_e32 v36, v37
	v_cvt_f16_f32_e32 v44, v39
	v_cvt_f16_f32_e32 v41, v41
	v_and_b32_e32 v38, 0x1bff, v11
	v_and_b32_e32 v40, 0x1bff, v12
	v_mad_u32_u24 v50, v38, s6, v29
	v_sub_f16_e32 v37, 0xdc00, v35
	v_sub_f16_e32 v38, 0xdc00, v36
	;; [unrolled: 1-line block ×6, first 2 shown]
	v_mov_b32_e32 v49, s2
	v_mad_u32_u24 v54, v40, s6, v29
	v_sub_f16_e32 v40, 0xdc00, v41
	v_mul_u32_u24_e32 v52, 0x10001, v37
	v_mul_u32_u24_e32 v56, 0x10001, v38
	;; [unrolled: 1-line block ×6, first 2 shown]
	ds_read2_b32 v[14:15], v49 offset1:1
	ds_read2_b32 v[42:43], v49 offset0:2 offset1:3
	ds_read2_b32 v[12:13], v49 offset0:4 offset1:5
	;; [unrolled: 1-line block ×3, first 2 shown]
	v_mul_u32_u24_e32 v58, 0x10001, v40
	v_sub_f16_e32 v36, 0xcc00, v36
	v_mul_u32_u24_e32 v74, 0x10001, v36
	s_add_i32 s8, s2, 0x400
	s_add_i32 s24, s24, 16
	v_lshl_add_u64 v[8:9], v[8:9], 0, s[0:1]
	s_waitcnt vmcnt(0)
	v_and_b32_e32 v35, 0x30003, v0
	v_and_b32_e32 v37, 0xc000c, v0
	v_and_b32_e32 v45, 0x300030, v0
	v_and_b32_e32 v47, 0xc000c0, v0
	v_lshrrev_b32_e32 v62, 8, v0
	v_and_b32_e32 v0, 0x30003, v1
	v_and_b32_e32 v38, 0xc000c, v1
	v_and_b32_e32 v51, 0x300030, v1
	v_and_b32_e32 v53, 0xc000c0, v1
	v_lshrrev_b32_e32 v63, 8, v1
	;; [unrolled: 5-line block ×4, first 2 shown]
	v_or_b32_e32 v3, 0x64006400, v35
	v_or_b32_e32 v0, 0x64006400, v0
	;; [unrolled: 1-line block ×7, first 2 shown]
	v_pk_add_f16 v39, v46, v3
	v_pk_add_f16 v37, v50, v0
	;; [unrolled: 1-line block ×4, first 2 shown]
	v_or_b32_e32 v38, 0x64006400, v38
	v_pk_fma_f16 v40, v35, s7, v52 op_sel_hi:[1,0,1]
	v_pk_fma_f16 v3, v48, s7, v57 op_sel_hi:[1,0,1]
	;; [unrolled: 1-line block ×3, first 2 shown]
	s_waitcnt lgkmcnt(3)
	v_pk_fma_f16 v35, v39, v14, 0
	v_pk_fma_f16 v48, v37, v14, 0
	;; [unrolled: 1-line block ×4, first 2 shown]
	v_pk_fma_f16 v38, v38, s7, v56 op_sel_hi:[1,0,1]
	v_pk_fma_f16 v73, v1, v15, v14
	v_sub_f16_e32 v14, 0xd400, v44
	v_pk_fma_f16 v71, v40, v15, v35
	v_pk_fma_f16 v72, v38, v15, v48
	;; [unrolled: 1-line block ×3, first 2 shown]
	v_sub_f16_e32 v15, 0xcc00, v44
	v_mul_u32_u24_e32 v75, 0x10001, v14
	v_sub_f16_e32 v14, 0xd400, v41
	v_mul_u32_u24_e32 v76, 0x10001, v15
	;; [unrolled: 2-line block ×3, first 2 shown]
	v_or_b32_e32 v14, 0x64006400, v45
	v_mul_u32_u24_e32 v78, 0x10001, v15
	v_or_b32_e32 v15, 0x64006400, v47
	v_pk_fma_f16 v47, v14, s18, v59 op_sel_hi:[1,0,1]
	v_or_b32_e32 v14, 0x64006400, v51
	v_pk_fma_f16 v48, v15, s19, v60 op_sel_hi:[1,0,1]
	;; [unrolled: 2-line block ×3, first 2 shown]
	v_or_b32_e32 v14, 0x64006400, v64
	s_waitcnt lgkmcnt(2)
	v_pk_fma_f16 v41, v47, v42, v71
	v_pk_fma_f16 v45, v15, s19, v74 op_sel_hi:[1,0,1]
	v_or_b32_e32 v15, 0x64006400, v65
	v_pk_fma_f16 v35, v14, s18, v75 op_sel_hi:[1,0,1]
	v_or_b32_e32 v14, 0x64006400, v67
	v_pk_fma_f16 v64, v48, v43, v41
	v_pk_fma_f16 v41, v44, v42, v72
	v_pk_fma_f16 v36, v15, s19, v76 op_sel_hi:[1,0,1]
	v_or_b32_e32 v15, 0x64006400, v68
	v_pk_fma_f16 v14, v14, s18, v77 op_sel_hi:[1,0,1]
	v_pk_fma_f16 v65, v45, v43, v41
	v_pk_fma_f16 v41, v35, v42, v70
	v_pk_fma_f16 v15, v15, s19, v78 op_sel_hi:[1,0,1]
	v_pk_fma_f16 v67, v36, v43, v41
	v_pk_fma_f16 v41, v14, v42, v73
	s_nop 0
	v_pk_fma_f16 v68, v15, v43, v41
	v_and_b32_e32 v41, 0x30003, v62
	v_or_b32_e32 v41, 0x64006400, v41
	v_pk_add_f16 v51, v46, v41
	v_and_b32_e32 v41, 0xc000c, v62
	v_or_b32_e32 v41, 0x64006400, v41
	v_pk_fma_f16 v53, v41, s7, v52 op_sel_hi:[1,0,1]
	v_and_b32_e32 v41, 0x30003, v63
	v_or_b32_e32 v41, 0x64006400, v41
	v_pk_add_f16 v50, v50, v41
	v_and_b32_e32 v41, 0xc000c, v63
	v_or_b32_e32 v41, 0x64006400, v41
	v_pk_fma_f16 v52, v41, s7, v56 op_sel_hi:[1,0,1]
	;; [unrolled: 6-line block ×3, first 2 shown]
	v_and_b32_e32 v41, 0x30003, v69
	v_or_b32_e32 v41, 0x64006400, v41
	v_and_b32_e32 v43, 0xc000c, v69
	s_waitcnt lgkmcnt(1)
	v_pk_fma_f16 v54, v51, v12, v64
	v_pk_add_f16 v41, v55, v41
	v_or_b32_e32 v43, 0x64006400, v43
	v_pk_fma_f16 v56, v53, v13, v54
	v_pk_fma_f16 v54, v50, v12, v65
	v_pk_fma_f16 v43, v43, s7, v58 op_sel_hi:[1,0,1]
	v_pk_fma_f16 v64, v52, v13, v54
	v_pk_fma_f16 v54, v42, v12, v67
	;; [unrolled: 1-line block ×5, first 2 shown]
	v_and_b32_e32 v12, 0x300030, v62
	v_or_b32_e32 v12, 0x64006400, v12
	v_pk_fma_f16 v58, v12, s18, v59 op_sel_hi:[1,0,1]
	v_and_b32_e32 v12, 0xc000c0, v62
	v_or_b32_e32 v12, 0x64006400, v12
	v_pk_fma_f16 v60, v12, s19, v60 op_sel_hi:[1,0,1]
	;; [unrolled: 3-line block ×4, first 2 shown]
	v_and_b32_e32 v12, 0x300030, v66
	v_or_b32_e32 v12, 0x64006400, v12
	s_waitcnt lgkmcnt(0)
	v_pk_fma_f16 v56, v58, v10, v56
	v_pk_fma_f16 v13, v12, s18, v75 op_sel_hi:[1,0,1]
	v_and_b32_e32 v12, 0xc000c0, v66
	v_pk_fma_f16 v61, v60, v11, v56
	v_pk_fma_f16 v56, v57, v10, v64
	v_or_b32_e32 v12, 0x64006400, v12
	v_pk_fma_f16 v62, v59, v11, v56
	v_pk_fma_f16 v56, v13, v10, v65
	ds_read2_b32 v[64:65], v49 offset0:64 offset1:65
	v_pk_fma_f16 v55, v12, s19, v76 op_sel_hi:[1,0,1]
	v_and_b32_e32 v12, 0x300030, v69
	v_or_b32_e32 v12, 0x64006400, v12
	v_and_b32_e32 v54, 0xc000c0, v69
	v_pk_fma_f16 v12, v12, s18, v77 op_sel_hi:[1,0,1]
	v_or_b32_e32 v54, 0x64006400, v54
	v_pk_fma_f16 v54, v54, s19, v78 op_sel_hi:[1,0,1]
	v_pk_fma_f16 v10, v12, v10, v67
	ds_read2_b32 v[66:67], v49 offset0:66 offset1:67
	ds_read2_b32 v[68:69], v49 offset0:68 offset1:69
	;; [unrolled: 1-line block ×3, first 2 shown]
	v_pk_fma_f16 v56, v55, v11, v56
	v_pk_fma_f16 v10, v54, v11, v10
	s_waitcnt lgkmcnt(3)
	v_pk_fma_f16 v11, v39, v64, 0
	v_pk_fma_f16 v63, v37, v64, 0
	;; [unrolled: 1-line block ×6, first 2 shown]
	s_waitcnt lgkmcnt(2)
	v_pk_fma_f16 v11, v47, v66, v11
	v_pk_fma_f16 v72, v3, v65, v72
	;; [unrolled: 1-line block ×8, first 2 shown]
	s_waitcnt lgkmcnt(1)
	v_pk_fma_f16 v11, v51, v68, v11
	v_pk_fma_f16 v65, v36, v67, v65
	;; [unrolled: 1-line block ×5, first 2 shown]
	ds_read2_b32 v[66:67], v49 offset0:128 offset1:129
	v_pk_fma_f16 v63, v52, v69, v63
	v_pk_fma_f16 v65, v42, v68, v65
	;; [unrolled: 1-line block ×3, first 2 shown]
	s_waitcnt lgkmcnt(1)
	v_pk_fma_f16 v11, v58, v70, v11
	v_pk_fma_f16 v72, v46, v69, v65
	;; [unrolled: 1-line block ×10, first 2 shown]
	ds_read2_b32 v[68:69], v49 offset0:130 offset1:131
	ds_read2_b32 v[70:71], v49 offset0:132 offset1:133
	;; [unrolled: 1-line block ×3, first 2 shown]
	s_waitcnt lgkmcnt(3)
	v_pk_fma_f16 v74, v39, v66, 0
	v_pk_fma_f16 v75, v37, v66, 0
	v_pk_fma_f16 v76, v2, v66, 0
	v_pk_fma_f16 v66, v0, v66, 0
	v_pk_fma_f16 v74, v40, v67, v74
	v_pk_fma_f16 v75, v38, v67, v75
	v_pk_fma_f16 v66, v1, v67, v66
	v_pk_fma_f16 v76, v3, v67, v76
	s_waitcnt lgkmcnt(2)
	v_pk_fma_f16 v67, v47, v68, v74
	v_pk_fma_f16 v74, v44, v68, v75
	v_pk_fma_f16 v66, v14, v68, v66
	v_pk_fma_f16 v67, v48, v69, v67
	v_pk_fma_f16 v74, v45, v69, v74
	v_pk_fma_f16 v75, v35, v68, v76
	v_pk_fma_f16 v66, v15, v69, v66
	v_pk_fma_f16 v75, v36, v69, v75
	;; [unrolled: 9-line block ×3, first 2 shown]
	s_waitcnt lgkmcnt(0)
	v_pk_fma_f16 v66, v58, v72, v67
	v_pk_fma_f16 v67, v12, v72, v70
	ds_read2_b32 v[70:71], v49 offset0:192 offset1:193
	v_pk_fma_f16 v68, v60, v73, v66
	v_pk_fma_f16 v66, v57, v72, v69
	;; [unrolled: 1-line block ×5, first 2 shown]
	s_waitcnt lgkmcnt(0)
	v_pk_fma_f16 v78, v37, v70, 0
	v_pk_fma_f16 v66, v55, v73, v66
	ds_read2_b32 v[72:73], v49 offset0:194 offset1:195
	ds_read2_b32 v[74:75], v49 offset0:196 offset1:197
	;; [unrolled: 1-line block ×3, first 2 shown]
	v_pk_fma_f16 v49, v39, v70, 0
	v_pk_fma_f16 v79, v2, v70, 0
	;; [unrolled: 1-line block ×7, first 2 shown]
	s_waitcnt lgkmcnt(2)
	v_pk_fma_f16 v71, v44, v72, v78
	v_pk_fma_f16 v70, v14, v72, v70
	;; [unrolled: 1-line block ×6, first 2 shown]
	s_waitcnt lgkmcnt(1)
	v_pk_fma_f16 v71, v50, v74, v71
	v_pk_fma_f16 v70, v41, v74, v70
	;; [unrolled: 1-line block ×7, first 2 shown]
	s_waitcnt lgkmcnt(0)
	v_pk_fma_f16 v71, v57, v76, v71
	v_pk_fma_f16 v70, v12, v76, v70
	;; [unrolled: 1-line block ×5, first 2 shown]
	v_mov_b32_e32 v70, s8
	v_pk_fma_f16 v49, v48, v73, v49
	v_pk_fma_f16 v79, v55, v77, v71
	ds_read2_b32 v[70:71], v70 offset1:1
	s_add_i32 s8, s2, 0x408
	v_pk_fma_f16 v49, v51, v74, v49
	v_mov_b32_e32 v72, s8
	s_add_i32 s8, s2, 0x410
	v_pk_fma_f16 v49, v53, v75, v49
	v_mov_b32_e32 v74, s8
	;; [unrolled: 3-line block ×3, first 2 shown]
	v_pk_fma_f16 v49, v60, v77, v49
	ds_read2_b32 v[72:73], v72 offset1:1
	ds_read2_b32 v[74:75], v74 offset1:1
	;; [unrolled: 1-line block ×3, first 2 shown]
	s_waitcnt lgkmcnt(3)
	v_pk_fma_f16 v81, v39, v70, 0
	v_pk_fma_f16 v82, v37, v70, 0
	;; [unrolled: 1-line block ×8, first 2 shown]
	s_waitcnt lgkmcnt(2)
	v_pk_fma_f16 v71, v47, v72, v81
	v_pk_fma_f16 v81, v44, v72, v82
	;; [unrolled: 1-line block ×7, first 2 shown]
	s_waitcnt lgkmcnt(1)
	v_pk_fma_f16 v71, v51, v74, v71
	v_pk_fma_f16 v82, v36, v73, v82
	;; [unrolled: 1-line block ×8, first 2 shown]
	s_waitcnt lgkmcnt(0)
	v_pk_fma_f16 v71, v58, v76, v71
	v_pk_fma_f16 v73, v46, v75, v73
	;; [unrolled: 1-line block ×5, first 2 shown]
	s_add_i32 s8, s2, 0x500
	v_pk_fma_f16 v82, v59, v77, v71
	v_pk_fma_f16 v71, v13, v76, v73
	;; [unrolled: 1-line block ×3, first 2 shown]
	v_mov_b32_e32 v70, s8
	v_pk_fma_f16 v83, v55, v77, v71
	ds_read2_b32 v[70:71], v70 offset1:1
	s_add_i32 s8, s2, 0x508
	v_mov_b32_e32 v72, s8
	s_add_i32 s8, s2, 0x510
	v_mov_b32_e32 v74, s8
	s_add_i32 s8, s2, 0x518
	s_waitcnt lgkmcnt(0)
	v_pk_fma_f16 v39, v39, v70, 0
	v_pk_fma_f16 v37, v37, v70, 0
	;; [unrolled: 1-line block ×4, first 2 shown]
	v_mov_b32_e32 v76, s8
	v_pk_fma_f16 v39, v40, v71, v39
	v_pk_fma_f16 v37, v38, v71, v37
	v_pack_b32_f16 v38, v61, v62
	v_perm_b32 v40, v62, v61, s20
	v_pk_fma_f16 v2, v3, v71, v2
	v_pk_fma_f16 v0, v1, v71, v0
	v_pack_b32_f16 v1, v56, v10
	v_perm_b32 v3, v10, v56, s20
	ds_read2_b32 v[72:73], v72 offset1:1
	ds_read2_b32 v[74:75], v74 offset1:1
	;; [unrolled: 1-line block ×3, first 2 shown]
	v_pk_add_f16 v38, v38, v40
	v_pk_add_f16 v1, v1, v3
	v_pk_fma_f16 v28, v38, v6, v28
	v_pack_b32_f16 v38, v64, v65
	v_perm_b32 v40, v65, v64, s20
	v_pk_fma_f16 v26, v1, v7, v26
	v_pack_b32_f16 v1, v11, v63
	v_perm_b32 v3, v63, v11, s20
	v_pk_add_f16 v38, v38, v40
	v_pk_add_f16 v1, v1, v3
	s_waitcnt lgkmcnt(2)
	v_pk_fma_f16 v39, v47, v72, v39
	v_pk_fma_f16 v37, v44, v72, v37
	v_pk_fma_f16 v25, v38, v6, v25
	v_pack_b32_f16 v38, v68, v69
	v_perm_b32 v40, v69, v68, s20
	v_pk_fma_f16 v2, v35, v72, v2
	v_pk_fma_f16 v0, v14, v72, v0
	v_pk_fma_f16 v24, v1, v7, v24
	v_pack_b32_f16 v1, v66, v67
	v_perm_b32 v3, v67, v66, s20
	v_pk_fma_f16 v39, v48, v73, v39
	v_pk_fma_f16 v37, v45, v73, v37
	v_pk_add_f16 v38, v38, v40
	v_pk_fma_f16 v2, v36, v73, v2
	v_pk_fma_f16 v0, v15, v73, v0
	v_pk_add_f16 v1, v1, v3
	s_waitcnt lgkmcnt(1)
	v_pk_fma_f16 v39, v51, v74, v39
	v_pk_fma_f16 v37, v50, v74, v37
	v_pk_fma_f16 v23, v38, v6, v23
	v_pack_b32_f16 v38, v49, v78
	v_perm_b32 v40, v78, v49, s20
	v_pk_fma_f16 v2, v42, v74, v2
	v_pk_fma_f16 v0, v41, v74, v0
	v_pk_fma_f16 v22, v1, v7, v22
	v_pack_b32_f16 v1, v79, v80
	v_perm_b32 v3, v80, v79, s20
	v_pk_fma_f16 v39, v53, v75, v39
	v_pk_fma_f16 v37, v52, v75, v37
	v_pk_add_f16 v38, v38, v40
	v_pk_fma_f16 v2, v46, v75, v2
	v_pk_fma_f16 v0, v43, v75, v0
	;; [unrolled: 17-line block ×3, first 2 shown]
	v_pk_add_f16 v1, v1, v3
	v_pk_fma_f16 v19, v38, v6, v19
	v_pack_b32_f16 v38, v39, v37
	v_perm_b32 v37, v37, v39, s20
	v_pk_fma_f16 v18, v1, v7, v18
	v_pack_b32_f16 v1, v2, v0
	v_perm_b32 v0, v0, v2, s20
	v_pk_add_f16 v37, v38, v37
	v_pk_add_f16 v0, v1, v0
	s_add_i32 s2, s2, 32
	v_pk_fma_f16 v17, v37, v6, v17
	v_pk_fma_f16 v16, v0, v7, v16
	s_cmp_ge_i32 s24, s25
	s_cbranch_scc1 .LBB35_20
.LBB35_18:                              ; =>This Inner Loop Header: Depth=1
	s_cmp_lg_u32 s24, s21
	s_cbranch_scc1 .LBB35_17
; %bb.19:                               ;   in Loop: Header=BB35_18 Depth=1
	s_add_i32 s5, s5, 1
	s_mul_i32 s8, s5, s16
	s_ashr_i32 s9, s8, 31
	s_lshr_b32 s9, s9, 28
	s_add_i32 s9, s8, s9
	s_ashr_i32 s9, s9, 4
	v_add_u32_e32 v0, s9, v27
	v_ashrrev_i32_e32 v1, 31, v0
	v_lshl_add_u64 v[0:1], v[0:1], 2, s[10:11]
	global_load_dword v2, v[0:1], off
	v_add_u32_e32 v0, s8, v4
	v_ashrrev_i32_e32 v1, 31, v0
	v_lshl_add_u64 v[0:1], v[0:1], 1, s[12:13]
	global_load_dwordx2 v[6:7], v[0:1], off
	s_add_i32 s21, s21, s4
	s_waitcnt vmcnt(1)
	v_lshrrev_b32_e32 v0, v30, v2
	v_bfe_u32 v5, v2, v30, 2
	v_bfe_u32 v32, v0, 2, 2
	;; [unrolled: 1-line block ×4, first 2 shown]
	s_branch .LBB35_17
.LBB35_20:
	s_mul_i32 s3, s3, s16
	v_add_u32_e32 v0, s3, v4
	v_ashrrev_i32_e32 v1, 31, v0
	v_lshl_add_u64 v[2:3], v[0:1], 1, s[14:15]
	global_load_dword v5, v[2:3], off
	s_mov_b64 s[0:1], 0
.LBB35_21:                              ; =>This Inner Loop Header: Depth=1
	s_waitcnt vmcnt(0)
	v_pk_add_f16 v4, v28, v5
	global_atomic_cmpswap v1, v[2:3], v[4:5], off sc0
	s_waitcnt vmcnt(0)
	v_cmp_eq_u32_e32 vcc, v5, v1
	s_or_b64 s[0:1], vcc, s[0:1]
	v_mov_b32_e32 v5, v1
	s_andn2_b64 exec, exec, s[0:1]
	s_cbranch_execnz .LBB35_21
; %bb.22:
	s_or_b64 exec, exec, s[0:1]
	global_load_dword v5, v[2:3], off offset:4
	s_mov_b64 s[0:1], 0
.LBB35_23:                              ; =>This Inner Loop Header: Depth=1
	s_waitcnt vmcnt(0)
	v_pk_add_f16 v4, v26, v5
	global_atomic_cmpswap v1, v[2:3], v[4:5], off offset:4 sc0
	s_waitcnt vmcnt(0)
	v_cmp_eq_u32_e32 vcc, v5, v1
	s_or_b64 s[0:1], vcc, s[0:1]
	v_mov_b32_e32 v5, v1
	s_andn2_b64 exec, exec, s[0:1]
	s_cbranch_execnz .LBB35_23
; %bb.24:
	s_or_b64 exec, exec, s[0:1]
	v_add_u32_e32 v0, s16, v0
	v_ashrrev_i32_e32 v1, 31, v0
	v_lshl_add_u64 v[2:3], v[0:1], 1, s[14:15]
	global_load_dword v5, v[2:3], off
	s_mov_b64 s[0:1], 0
.LBB35_25:                              ; =>This Inner Loop Header: Depth=1
	s_waitcnt vmcnt(0)
	v_pk_add_f16 v4, v25, v5
	global_atomic_cmpswap v1, v[2:3], v[4:5], off sc0
	s_waitcnt vmcnt(0)
	v_cmp_eq_u32_e32 vcc, v5, v1
	s_or_b64 s[0:1], vcc, s[0:1]
	v_mov_b32_e32 v5, v1
	s_andn2_b64 exec, exec, s[0:1]
	s_cbranch_execnz .LBB35_25
; %bb.26:
	s_or_b64 exec, exec, s[0:1]
	global_load_dword v5, v[2:3], off offset:4
	s_mov_b64 s[0:1], 0
.LBB35_27:                              ; =>This Inner Loop Header: Depth=1
	s_waitcnt vmcnt(0)
	v_pk_add_f16 v4, v24, v5
	global_atomic_cmpswap v1, v[2:3], v[4:5], off offset:4 sc0
	s_waitcnt vmcnt(0)
	v_cmp_eq_u32_e32 vcc, v5, v1
	s_or_b64 s[0:1], vcc, s[0:1]
	v_mov_b32_e32 v5, v1
	s_andn2_b64 exec, exec, s[0:1]
	s_cbranch_execnz .LBB35_27
; %bb.28:
	s_or_b64 exec, exec, s[0:1]
	v_add_u32_e32 v0, s16, v0
	v_ashrrev_i32_e32 v1, 31, v0
	v_lshl_add_u64 v[2:3], v[0:1], 1, s[14:15]
	global_load_dword v5, v[2:3], off
	s_mov_b64 s[0:1], 0
.LBB35_29:                              ; =>This Inner Loop Header: Depth=1
	s_waitcnt vmcnt(0)
	v_pk_add_f16 v4, v23, v5
	global_atomic_cmpswap v1, v[2:3], v[4:5], off sc0
	s_waitcnt vmcnt(0)
	v_cmp_eq_u32_e32 vcc, v5, v1
	s_or_b64 s[0:1], vcc, s[0:1]
	v_mov_b32_e32 v5, v1
	s_andn2_b64 exec, exec, s[0:1]
	s_cbranch_execnz .LBB35_29
; %bb.30:
	s_or_b64 exec, exec, s[0:1]
	global_load_dword v5, v[2:3], off offset:4
	s_mov_b64 s[0:1], 0
.LBB35_31:                              ; =>This Inner Loop Header: Depth=1
	s_waitcnt vmcnt(0)
	v_pk_add_f16 v4, v22, v5
	global_atomic_cmpswap v1, v[2:3], v[4:5], off offset:4 sc0
	s_waitcnt vmcnt(0)
	v_cmp_eq_u32_e32 vcc, v5, v1
	s_or_b64 s[0:1], vcc, s[0:1]
	v_mov_b32_e32 v5, v1
	s_andn2_b64 exec, exec, s[0:1]
	s_cbranch_execnz .LBB35_31
; %bb.32:
	s_or_b64 exec, exec, s[0:1]
	v_add_u32_e32 v0, s16, v0
	v_ashrrev_i32_e32 v1, 31, v0
	v_lshl_add_u64 v[2:3], v[0:1], 1, s[14:15]
	global_load_dword v5, v[2:3], off
	s_mov_b64 s[0:1], 0
.LBB35_33:                              ; =>This Inner Loop Header: Depth=1
	s_waitcnt vmcnt(0)
	v_pk_add_f16 v4, v21, v5
	global_atomic_cmpswap v1, v[2:3], v[4:5], off sc0
	s_waitcnt vmcnt(0)
	v_cmp_eq_u32_e32 vcc, v5, v1
	s_or_b64 s[0:1], vcc, s[0:1]
	v_mov_b32_e32 v5, v1
	s_andn2_b64 exec, exec, s[0:1]
	s_cbranch_execnz .LBB35_33
; %bb.34:
	s_or_b64 exec, exec, s[0:1]
	global_load_dword v5, v[2:3], off offset:4
	s_mov_b64 s[0:1], 0
.LBB35_35:                              ; =>This Inner Loop Header: Depth=1
	s_waitcnt vmcnt(0)
	v_pk_add_f16 v4, v20, v5
	global_atomic_cmpswap v1, v[2:3], v[4:5], off offset:4 sc0
	s_waitcnt vmcnt(0)
	v_cmp_eq_u32_e32 vcc, v5, v1
	s_or_b64 s[0:1], vcc, s[0:1]
	v_mov_b32_e32 v5, v1
	s_andn2_b64 exec, exec, s[0:1]
	s_cbranch_execnz .LBB35_35
; %bb.36:
	s_or_b64 exec, exec, s[0:1]
	v_add_u32_e32 v0, s16, v0
	v_ashrrev_i32_e32 v1, 31, v0
	v_lshl_add_u64 v[2:3], v[0:1], 1, s[14:15]
	global_load_dword v5, v[2:3], off
	s_mov_b64 s[0:1], 0
.LBB35_37:                              ; =>This Inner Loop Header: Depth=1
	s_waitcnt vmcnt(0)
	v_pk_add_f16 v4, v19, v5
	global_atomic_cmpswap v1, v[2:3], v[4:5], off sc0
	s_waitcnt vmcnt(0)
	v_cmp_eq_u32_e32 vcc, v5, v1
	s_or_b64 s[0:1], vcc, s[0:1]
	v_mov_b32_e32 v5, v1
	s_andn2_b64 exec, exec, s[0:1]
	s_cbranch_execnz .LBB35_37
; %bb.38:
	s_or_b64 exec, exec, s[0:1]
	global_load_dword v5, v[2:3], off offset:4
	s_mov_b64 s[0:1], 0
.LBB35_39:                              ; =>This Inner Loop Header: Depth=1
	s_waitcnt vmcnt(0)
	v_pk_add_f16 v4, v18, v5
	global_atomic_cmpswap v1, v[2:3], v[4:5], off offset:4 sc0
	s_waitcnt vmcnt(0)
	v_cmp_eq_u32_e32 vcc, v5, v1
	s_or_b64 s[0:1], vcc, s[0:1]
	v_mov_b32_e32 v5, v1
	s_andn2_b64 exec, exec, s[0:1]
	s_cbranch_execnz .LBB35_39
; %bb.40:
	s_or_b64 exec, exec, s[0:1]
	v_add_u32_e32 v0, s16, v0
	v_ashrrev_i32_e32 v1, 31, v0
	v_lshl_add_u64 v[0:1], v[0:1], 1, s[14:15]
	global_load_dword v3, v[0:1], off
	s_mov_b64 s[0:1], 0
.LBB35_41:                              ; =>This Inner Loop Header: Depth=1
	s_waitcnt vmcnt(0)
	v_pk_add_f16 v2, v17, v3
	global_atomic_cmpswap v2, v[0:1], v[2:3], off sc0
	s_waitcnt vmcnt(0)
	v_cmp_eq_u32_e32 vcc, v3, v2
	s_or_b64 s[0:1], vcc, s[0:1]
	v_mov_b32_e32 v3, v2
	s_andn2_b64 exec, exec, s[0:1]
	s_cbranch_execnz .LBB35_41
; %bb.42:
	s_or_b64 exec, exec, s[0:1]
	global_load_dword v3, v[0:1], off offset:4
	s_mov_b64 s[0:1], 0
.LBB35_43:                              ; =>This Inner Loop Header: Depth=1
	s_waitcnt vmcnt(0)
	v_pk_add_f16 v2, v16, v3
	global_atomic_cmpswap v2, v[0:1], v[2:3], off offset:4 sc0
	s_waitcnt vmcnt(0)
	v_cmp_eq_u32_e32 vcc, v3, v2
	s_or_b64 s[0:1], vcc, s[0:1]
	v_mov_b32_e32 v3, v2
	s_andn2_b64 exec, exec, s[0:1]
	s_cbranch_execnz .LBB35_43
.LBB35_44:
	s_endpgm
	.section	.rodata,"a",@progbits
	.p2align	6, 0x0
	.amdhsa_kernel _ZN4vllm4gptq33gemm_half_q_half_gptq_2bit_kernelILb1ELi6EEEvPK6__halfPKjS6_S4_PS2_iiiibPKi
		.amdhsa_group_segment_fixed_size 1536
		.amdhsa_private_segment_fixed_size 0
		.amdhsa_kernarg_size 72
		.amdhsa_user_sgpr_count 2
		.amdhsa_user_sgpr_dispatch_ptr 0
		.amdhsa_user_sgpr_queue_ptr 0
		.amdhsa_user_sgpr_kernarg_segment_ptr 1
		.amdhsa_user_sgpr_dispatch_id 0
		.amdhsa_user_sgpr_kernarg_preload_length 0
		.amdhsa_user_sgpr_kernarg_preload_offset 0
		.amdhsa_user_sgpr_private_segment_size 0
		.amdhsa_uses_dynamic_stack 0
		.amdhsa_enable_private_segment 0
		.amdhsa_system_sgpr_workgroup_id_x 1
		.amdhsa_system_sgpr_workgroup_id_y 1
		.amdhsa_system_sgpr_workgroup_id_z 1
		.amdhsa_system_sgpr_workgroup_info 0
		.amdhsa_system_vgpr_workitem_id 0
		.amdhsa_next_free_vgpr 85
		.amdhsa_next_free_sgpr 26
		.amdhsa_accum_offset 88
		.amdhsa_reserve_vcc 1
		.amdhsa_float_round_mode_32 0
		.amdhsa_float_round_mode_16_64 0
		.amdhsa_float_denorm_mode_32 3
		.amdhsa_float_denorm_mode_16_64 3
		.amdhsa_dx10_clamp 1
		.amdhsa_ieee_mode 1
		.amdhsa_fp16_overflow 0
		.amdhsa_tg_split 0
		.amdhsa_exception_fp_ieee_invalid_op 0
		.amdhsa_exception_fp_denorm_src 0
		.amdhsa_exception_fp_ieee_div_zero 0
		.amdhsa_exception_fp_ieee_overflow 0
		.amdhsa_exception_fp_ieee_underflow 0
		.amdhsa_exception_fp_ieee_inexact 0
		.amdhsa_exception_int_div_zero 0
	.end_amdhsa_kernel
	.section	.text._ZN4vllm4gptq33gemm_half_q_half_gptq_2bit_kernelILb1ELi6EEEvPK6__halfPKjS6_S4_PS2_iiiibPKi,"axG",@progbits,_ZN4vllm4gptq33gemm_half_q_half_gptq_2bit_kernelILb1ELi6EEEvPK6__halfPKjS6_S4_PS2_iiiibPKi,comdat
.Lfunc_end35:
	.size	_ZN4vllm4gptq33gemm_half_q_half_gptq_2bit_kernelILb1ELi6EEEvPK6__halfPKjS6_S4_PS2_iiiibPKi, .Lfunc_end35-_ZN4vllm4gptq33gemm_half_q_half_gptq_2bit_kernelILb1ELi6EEEvPK6__halfPKjS6_S4_PS2_iiiibPKi
                                        ; -- End function
	.set _ZN4vllm4gptq33gemm_half_q_half_gptq_2bit_kernelILb1ELi6EEEvPK6__halfPKjS6_S4_PS2_iiiibPKi.num_vgpr, 85
	.set _ZN4vllm4gptq33gemm_half_q_half_gptq_2bit_kernelILb1ELi6EEEvPK6__halfPKjS6_S4_PS2_iiiibPKi.num_agpr, 0
	.set _ZN4vllm4gptq33gemm_half_q_half_gptq_2bit_kernelILb1ELi6EEEvPK6__halfPKjS6_S4_PS2_iiiibPKi.numbered_sgpr, 26
	.set _ZN4vllm4gptq33gemm_half_q_half_gptq_2bit_kernelILb1ELi6EEEvPK6__halfPKjS6_S4_PS2_iiiibPKi.num_named_barrier, 0
	.set _ZN4vllm4gptq33gemm_half_q_half_gptq_2bit_kernelILb1ELi6EEEvPK6__halfPKjS6_S4_PS2_iiiibPKi.private_seg_size, 0
	.set _ZN4vllm4gptq33gemm_half_q_half_gptq_2bit_kernelILb1ELi6EEEvPK6__halfPKjS6_S4_PS2_iiiibPKi.uses_vcc, 1
	.set _ZN4vllm4gptq33gemm_half_q_half_gptq_2bit_kernelILb1ELi6EEEvPK6__halfPKjS6_S4_PS2_iiiibPKi.uses_flat_scratch, 0
	.set _ZN4vllm4gptq33gemm_half_q_half_gptq_2bit_kernelILb1ELi6EEEvPK6__halfPKjS6_S4_PS2_iiiibPKi.has_dyn_sized_stack, 0
	.set _ZN4vllm4gptq33gemm_half_q_half_gptq_2bit_kernelILb1ELi6EEEvPK6__halfPKjS6_S4_PS2_iiiibPKi.has_recursion, 0
	.set _ZN4vllm4gptq33gemm_half_q_half_gptq_2bit_kernelILb1ELi6EEEvPK6__halfPKjS6_S4_PS2_iiiibPKi.has_indirect_call, 0
	.section	.AMDGPU.csdata,"",@progbits
; Kernel info:
; codeLenInByte = 5556
; TotalNumSgprs: 32
; NumVgprs: 85
; NumAgprs: 0
; TotalNumVgprs: 85
; ScratchSize: 0
; MemoryBound: 0
; FloatMode: 240
; IeeeMode: 1
; LDSByteSize: 1536 bytes/workgroup (compile time only)
; SGPRBlocks: 3
; VGPRBlocks: 10
; NumSGPRsForWavesPerEU: 32
; NumVGPRsForWavesPerEU: 85
; AccumOffset: 88
; Occupancy: 5
; WaveLimiterHint : 0
; COMPUTE_PGM_RSRC2:SCRATCH_EN: 0
; COMPUTE_PGM_RSRC2:USER_SGPR: 2
; COMPUTE_PGM_RSRC2:TRAP_HANDLER: 0
; COMPUTE_PGM_RSRC2:TGID_X_EN: 1
; COMPUTE_PGM_RSRC2:TGID_Y_EN: 1
; COMPUTE_PGM_RSRC2:TGID_Z_EN: 1
; COMPUTE_PGM_RSRC2:TIDIG_COMP_CNT: 0
; COMPUTE_PGM_RSRC3_GFX90A:ACCUM_OFFSET: 21
; COMPUTE_PGM_RSRC3_GFX90A:TG_SPLIT: 0
	.section	.text._ZN4vllm4gptq33gemm_half_q_half_gptq_3bit_kernelILb1ELi6EEEvPK6__halfPKjS6_S4_PS2_iiiibPKi,"axG",@progbits,_ZN4vllm4gptq33gemm_half_q_half_gptq_3bit_kernelILb1ELi6EEEvPK6__halfPKjS6_S4_PS2_iiiibPKi,comdat
	.protected	_ZN4vllm4gptq33gemm_half_q_half_gptq_3bit_kernelILb1ELi6EEEvPK6__halfPKjS6_S4_PS2_iiiibPKi ; -- Begin function _ZN4vllm4gptq33gemm_half_q_half_gptq_3bit_kernelILb1ELi6EEEvPK6__halfPKjS6_S4_PS2_iiiibPKi
	.globl	_ZN4vllm4gptq33gemm_half_q_half_gptq_3bit_kernelILb1ELi6EEEvPK6__halfPKjS6_S4_PS2_iiiibPKi
	.p2align	8
	.type	_ZN4vllm4gptq33gemm_half_q_half_gptq_3bit_kernelILb1ELi6EEEvPK6__halfPKjS6_S4_PS2_iiiibPKi,@function
_ZN4vllm4gptq33gemm_half_q_half_gptq_3bit_kernelILb1ELi6EEEvPK6__halfPKjS6_S4_PS2_iiiibPKi: ; @_ZN4vllm4gptq33gemm_half_q_half_gptq_3bit_kernelILb1ELi6EEEvPK6__halfPKjS6_S4_PS2_iiiibPKi
; %bb.0:
	s_load_dwordx8 s[8:15], s[0:1], 0x8
	s_load_dwordx4 s[16:19], s[0:1], 0x2c
	s_lshl_b32 s27, s4, 7
	s_mul_i32 s26, s3, 6
	s_add_i32 s3, s27, 0x80
	v_cvt_f64_u32_e32 v[2:3], s3
	s_waitcnt lgkmcnt(0)
	v_cvt_f64_i32_e32 v[4:5], s17
	v_min_f64 v[2:3], v[2:3], v[4:5]
	v_cvt_i32_f64_e32 v1, v[2:3]
	v_add_u32_e32 v2, s27, v0
	v_readfirstlane_b32 s28, v1
	v_cmp_lt_u32_e32 vcc, v2, v1
	s_and_saveexec_b64 s[4:5], vcc
	s_cbranch_execz .LBB36_14
; %bb.1:
	s_load_dwordx2 s[22:23], s[0:1], 0x40
	s_load_dwordx2 s[6:7], s[0:1], 0x0
	v_mov_b32_e32 v3, 0
	v_mov_b64_e32 v[6:7], v[2:3]
	s_waitcnt lgkmcnt(0)
	s_cmp_lg_u64 s[22:23], 0
	s_cselect_b64 s[20:21], -1, 0
	s_cmp_eq_u64 s[22:23], 0
	v_lshl_add_u64 v[4:5], v[2:3], 2, s[22:23]
	s_cbranch_scc1 .LBB36_3
; %bb.2:
	global_load_dword v6, v[4:5], off
	s_waitcnt vmcnt(0)
	v_ashrrev_i32_e32 v7, 31, v6
.LBB36_3:
	s_mul_i32 s22, s26, s17
	s_ashr_i32 s23, s22, 31
	s_lshl_b64 s[0:1], s[22:23], 1
	s_add_u32 s0, s6, s0
	s_addc_u32 s1, s7, s1
	v_lshl_add_u64 v[6:7], v[6:7], 1, s[0:1]
	global_load_ushort v6, v[6:7], off
	v_lshlrev_b32_e32 v1, 1, v0
	v_cndmask_b32_e64 v7, 0, 1, s[20:21]
	v_cmp_ne_u32_e64 s[0:1], 1, v7
	s_andn2_b64 vcc, exec, s[20:21]
	s_waitcnt vmcnt(0)
	ds_write_b16 v1, v6
	v_mov_b64_e32 v[6:7], v[2:3]
	s_cbranch_vccnz .LBB36_5
; %bb.4:
	global_load_dword v6, v[4:5], off
	s_waitcnt vmcnt(0)
	v_ashrrev_i32_e32 v7, 31, v6
.LBB36_5:
	s_add_i32 s20, s22, s17
	s_ashr_i32 s21, s20, 31
	s_lshl_b64 s[22:23], s[20:21], 1
	s_add_u32 s22, s6, s22
	s_addc_u32 s23, s7, s23
	v_lshl_add_u64 v[6:7], v[6:7], 1, s[22:23]
	global_load_ushort v6, v[6:7], off
	s_and_b64 vcc, exec, s[0:1]
	s_waitcnt vmcnt(0)
	ds_write_b16 v1, v6 offset:256
	v_mov_b64_e32 v[6:7], v[2:3]
	s_cbranch_vccnz .LBB36_7
; %bb.6:
	global_load_dword v6, v[4:5], off
	s_waitcnt vmcnt(0)
	v_ashrrev_i32_e32 v7, 31, v6
.LBB36_7:
	s_add_i32 s20, s20, s17
	s_ashr_i32 s21, s20, 31
	s_lshl_b64 s[22:23], s[20:21], 1
	s_add_u32 s22, s6, s22
	s_addc_u32 s23, s7, s23
	v_lshl_add_u64 v[6:7], v[6:7], 1, s[22:23]
	global_load_ushort v6, v[6:7], off
	s_and_b64 vcc, exec, s[0:1]
	s_waitcnt vmcnt(0)
	ds_write_b16 v1, v6 offset:512
	;; [unrolled: 17-line block ×4, first 2 shown]
	s_cbranch_vccnz .LBB36_13
; %bb.12:
	global_load_dword v2, v[4:5], off
	s_waitcnt vmcnt(0)
	v_ashrrev_i32_e32 v3, 31, v2
.LBB36_13:
	s_add_i32 s0, s20, s17
	s_ashr_i32 s1, s0, 31
	s_lshl_b64 s[0:1], s[0:1], 1
	s_add_u32 s0, s6, s0
	s_addc_u32 s1, s7, s1
	v_lshl_add_u64 v[2:3], v[2:3], 1, s[0:1]
	global_load_ushort v2, v[2:3], off
	s_waitcnt vmcnt(0)
	ds_write_b16 v1, v2 offset:1280
.LBB36_14:
	s_or_b64 exec, exec, s[4:5]
	v_lshlrev_b32_e32 v0, 2, v0
	v_lshl_add_u32 v12, s2, 9, v0
	v_cmp_gt_i32_e32 vcc, s16, v12
	s_and_saveexec_b64 s[0:1], vcc
	s_cbranch_execz .LBB36_76
; %bb.15:
	s_abs_i32 s0, s18
	v_cvt_f32_u32_e32 v1, s0
	s_sub_i32 s3, 0, s0
	s_abs_i32 s2, s17
	s_xor_b32 s1, s17, s18
	v_rcp_iflag_f32_e32 v1, v1
	s_ashr_i32 s1, s1, 31
	v_and_b32_e32 v2, 28, v0
	v_cmp_lt_u32_e32 vcc, 4, v2
	v_mul_f32_e32 v1, 0x4f7ffffe, v1
	v_cvt_u32_f32_e32 v1, v1
	s_waitcnt lgkmcnt(0)
	s_barrier
	v_readfirstlane_b32 s4, v1
	s_mul_i32 s3, s3, s4
	s_mul_hi_u32 s3, s4, s3
	s_add_i32 s4, s4, s3
	s_mul_hi_u32 s3, s2, s4
	s_mul_i32 s4, s3, s0
	s_sub_i32 s2, s2, s4
	s_add_i32 s5, s3, 1
	s_sub_i32 s4, s2, s0
	s_cmp_ge_u32 s2, s0
	s_cselect_b32 s3, s5, s3
	s_cselect_b32 s2, s4, s2
	s_add_i32 s4, s3, 1
	s_cmp_ge_u32 s2, s0
	s_cselect_b32 s0, s4, s3
	s_xor_b32 s0, s0, s1
	s_sub_i32 s29, s0, s1
	v_cvt_f32_u32_e32 v1, s29
	s_sub_i32 s0, 0, s29
                                        ; implicit-def: $vgpr3
                                        ; implicit-def: $vgpr0
	v_rcp_iflag_f32_e32 v1, v1
	s_nop 0
	v_mul_f32_e32 v1, 0x4f7ffffe, v1
	v_cvt_u32_f32_e32 v1, v1
	s_nop 0
	v_readfirstlane_b32 s1, v1
	s_mul_i32 s0, s0, s1
	s_mul_hi_u32 s0, s1, s0
	s_add_i32 s1, s1, s0
	s_mul_hi_u32 s0, s27, s1
	s_mul_i32 s1, s0, s29
	s_sub_i32 s1, s27, s1
	s_add_i32 s2, s0, 1
	s_sub_i32 s3, s1, s29
	s_cmp_ge_u32 s1, s29
	s_cselect_b32 s0, s2, s0
	s_cselect_b32 s1, s3, s1
	s_add_i32 s2, s0, 1
	s_cmp_ge_u32 s1, s29
	s_cselect_b32 s30, s2, s0
	s_and_saveexec_b64 s[0:1], vcc
	s_xor_b64 s[2:3], exec, s[0:1]
	s_cbranch_execz .LBB36_29
; %bb.16:
	v_cmp_ne_u32_e64 s[0:1], 8, v2
                                        ; implicit-def: $vgpr3
                                        ; implicit-def: $vgpr0
	s_and_saveexec_b64 s[4:5], s[0:1]
	s_xor_b64 s[4:5], exec, s[4:5]
	s_cbranch_execz .LBB36_26
; %bb.17:
	v_cmp_lt_u32_e64 s[0:1], 16, v2
                                        ; implicit-def: $vgpr3
                                        ; implicit-def: $vgpr0
	s_and_saveexec_b64 s[6:7], s[0:1]
	s_xor_b64 s[6:7], exec, s[6:7]
	s_cbranch_execz .LBB36_23
; %bb.18:
	s_mul_i32 s17, s30, s16
	v_lshl_add_u32 v0, v12, 1, v12
	s_ashr_i32 s0, s17, 31
	v_ashrrev_i32_e32 v1, 31, v0
	s_lshr_b32 s0, s0, 27
	v_lshrrev_b32_e32 v1, 27, v1
	s_add_i32 s0, s17, s0
	v_add_u32_e32 v0, v0, v1
	s_ashr_i32 s0, s0, 5
	v_ashrrev_i32_e32 v0, 5, v0
	v_mad_u64_u32 v[0:1], s[0:1], s0, 3, v[0:1]
	v_ashrrev_i32_e32 v1, 31, v0
	v_lshl_add_u64 v[0:1], v[0:1], 2, s[10:11]
	global_load_dword v4, v[0:1], off
	v_cmp_ne_u32_e64 s[0:1], 20, v2
                                        ; implicit-def: $vgpr3
	s_and_saveexec_b64 s[20:21], s[0:1]
	s_xor_b64 s[0:1], exec, s[20:21]
	s_cbranch_execz .LBB36_20
; %bb.19:
	v_not_b32_e32 v0, 63
	v_mad_u32_u24 v0, v2, 3, v0
	s_waitcnt vmcnt(0)
	v_lshrrev_b32_e32 v3, v0, v4
                                        ; implicit-def: $vgpr0_vgpr1
                                        ; implicit-def: $vgpr4
.LBB36_20:
	s_andn2_saveexec_b64 s[0:1], s[0:1]
	s_cbranch_execz .LBB36_22
; %bb.21:
	global_load_dword v0, v[0:1], off offset:4
	s_waitcnt vmcnt(0)
	v_alignbit_b32 v0, v0, v4, 28
	v_and_b32_e32 v3, 0xfff, v0
.LBB36_22:
	s_or_b64 exec, exec, s[0:1]
	v_mov_b32_e32 v0, s17
.LBB36_23:
	s_andn2_saveexec_b64 s[0:1], s[6:7]
	s_cbranch_execz .LBB36_25
; %bb.24:
	s_mul_i32 s17, s30, s16
	v_lshl_add_u32 v0, v12, 1, v12
	s_ashr_i32 s6, s17, 31
	v_ashrrev_i32_e32 v1, 31, v0
	s_lshr_b32 s6, s6, 27
	v_lshrrev_b32_e32 v1, 27, v1
	s_add_i32 s6, s17, s6
	v_add_u32_e32 v0, v0, v1
	s_ashr_i32 s6, s6, 5
	v_ashrrev_i32_e32 v0, 5, v0
	v_mad_u64_u32 v[0:1], s[6:7], s6, 3, v[0:1]
	v_ashrrev_i32_e32 v1, 31, v0
	v_lshl_add_u64 v[0:1], v[0:1], 2, s[10:11]
	global_load_dword v0, v[0:1], off
	v_not_b32_e32 v1, 31
	v_mad_u32_u24 v1, v2, 3, v1
	s_waitcnt vmcnt(0)
	v_lshrrev_b32_e32 v3, v1, v0
	v_mov_b32_e32 v0, s17
.LBB36_25:
	s_or_b64 exec, exec, s[0:1]
.LBB36_26:
	s_andn2_saveexec_b64 s[0:1], s[4:5]
	s_cbranch_execz .LBB36_28
; %bb.27:
	s_mul_i32 s6, s30, s16
	v_lshl_add_u32 v0, v12, 1, v12
	s_ashr_i32 s4, s6, 31
	v_ashrrev_i32_e32 v1, 31, v0
	s_lshr_b32 s4, s4, 27
	v_lshrrev_b32_e32 v1, 27, v1
	s_add_i32 s4, s6, s4
	v_add_u32_e32 v0, v0, v1
	s_ashr_i32 s4, s4, 5
	v_ashrrev_i32_e32 v0, 5, v0
	v_mad_u64_u32 v[0:1], s[4:5], s4, 3, v[0:1]
	v_ashrrev_i32_e32 v1, 31, v0
	v_lshl_add_u64 v[0:1], v[0:1], 2, s[10:11]
	global_load_dwordx2 v[0:1], v[0:1], off
	s_mov_b32 s4, 0x2010007
	s_waitcnt vmcnt(0)
	v_perm_b32 v0, v0, v1, s4
	v_and_b32_e32 v3, 0xfff, v0
	v_mov_b32_e32 v0, s6
.LBB36_28:
	s_or_b64 exec, exec, s[0:1]
.LBB36_29:
	s_or_saveexec_b64 s[0:1], s[2:3]
	v_lshl_add_u32 v1, v12, 1, v12
	s_waitcnt vmcnt(0)
	v_ashrrev_i32_e32 v4, 31, v1
	v_mul_u32_u24_e32 v31, 3, v2
	s_xor_b64 exec, exec, s[0:1]
	s_cbranch_execz .LBB36_31
; %bb.30:
	s_mul_i32 s4, s30, s16
	s_ashr_i32 s2, s4, 31
	s_lshr_b32 s2, s2, 27
	v_lshrrev_b32_e32 v0, 27, v4
	s_add_i32 s2, s4, s2
	v_add_u32_e32 v0, v1, v0
	s_ashr_i32 s2, s2, 5
	v_ashrrev_i32_e32 v0, 5, v0
	v_mad_u64_u32 v[6:7], s[2:3], s2, 3, v[0:1]
	v_ashrrev_i32_e32 v7, 31, v6
	v_lshl_add_u64 v[6:7], v[6:7], 2, s[10:11]
	global_load_dword v0, v[6:7], off
	s_waitcnt vmcnt(0)
	v_lshrrev_b32_e32 v3, v31, v0
	v_mov_b32_e32 v0, s4
.LBB36_31:
	s_or_b64 exec, exec, s[0:1]
	s_mov_b32 s31, 0
	v_mov_b32_e32 v34, 0
	s_cmp_ge_i32 s27, s28
	v_mov_b32_e32 v33, 0
	v_mov_b32_e32 v32, 0
	;; [unrolled: 1-line block ×11, first 2 shown]
	s_cbranch_scc1 .LBB36_52
; %bb.32:
	v_add_u32_e32 v6, v0, v12
	v_ashrrev_i32_e32 v7, 31, v6
	v_lshl_add_u64 v[6:7], v[6:7], 1, s[12:13]
	global_load_dwordx2 v[18:19], v[6:7], off
	s_lshr_b32 s0, s27, 5
	s_mul_i32 s0, s0, s16
	s_mul_i32 s6, s0, 3
	s_add_i32 s33, s29, s27
	s_ashr_i32 s7, s6, 31
	s_bitcmp1_b32 s19, 0
	s_cselect_b64 s[0:1], -1, 0
	v_lshrrev_b32_e32 v0, 27, v4
	s_xor_b64 s[0:1], s[0:1], -1
	v_add_u32_e32 v0, v1, v0
	s_ashr_i32 s17, s16, 31
	s_lshl_b64 s[6:7], s[6:7], 2
	v_ashrrev_i32_e32 v14, 5, v0
	v_not_b32_e32 v0, 63
	s_add_u32 s6, s8, s6
	v_ashrrev_i32_e32 v13, 31, v12
	v_mad_u32_u24 v36, v2, 3, v0
	v_not_b32_e32 v0, 31
	s_addc_u32 s7, s9, s7
	v_cndmask_b32_e64 v35, 0, 1, s[0:1]
	v_bfe_u32 v39, v3, 9, 3
	v_bfe_u32 v40, v3, 6, 3
	;; [unrolled: 1-line block ×3, first 2 shown]
	v_and_b32_e32 v42, 7, v3
	v_cmp_ne_u32_e64 s[0:1], 8, v2
	v_cmp_lt_u32_e64 s[2:3], 16, v2
	v_cmp_ne_u32_e64 s[4:5], 20, v2
	v_mad_u32_u24 v37, v2, 3, v0
	v_lshl_add_u64 v[16:17], v[12:13], 2, s[6:7]
	s_mul_hi_i32 s7, s16, 12
	s_mul_i32 s6, s16, 12
	s_lshl_b64 s[8:9], s[16:17], 2
	v_mov_b32_e32 v13, 0
	s_mov_b32 s17, 0x2010007
	s_mov_b32 s34, 0x10001
	;; [unrolled: 1-line block ×3, first 2 shown]
	s_movk_i32 s36, 0x3000
	s_movk_i32 s37, 0x2400
	s_mov_b32 s38, 0x7060302
	v_mov_b32_e32 v38, 0xe400e400
	v_mov_b32_e32 v15, 0
	;; [unrolled: 1-line block ×12, first 2 shown]
	s_branch .LBB36_35
.LBB36_33:                              ;   in Loop: Header=BB36_35 Depth=1
	s_or_b64 exec, exec, s[18:19]
	v_add_u32_e32 v0, s39, v12
	v_ashrrev_i32_e32 v1, 31, v0
	v_lshl_add_u64 v[0:1], v[0:1], 1, s[12:13]
	global_load_dwordx2 v[18:19], v[0:1], off
	s_add_i32 s33, s33, s29
	v_and_b32_e32 v42, 7, v2
	v_bfe_u32 v41, v2, 3, 3
	v_bfe_u32 v40, v2, 6, 3
	;; [unrolled: 1-line block ×3, first 2 shown]
.LBB36_34:                              ;   in Loop: Header=BB36_35 Depth=1
	v_lshl_add_u64 v[0:1], v[16:17], 0, s[8:9]
	global_load_dwordx4 v[8:11], v[16:17], off
	global_load_dwordx4 v[4:7], v[0:1], off
	v_lshl_add_u64 v[0:1], v[0:1], 0, s[8:9]
	global_load_dwordx4 v[0:3], v[0:1], off
	v_add_u32_e32 v21, v41, v35
	v_add_u32_e32 v43, v40, v35
	;; [unrolled: 1-line block ×3, first 2 shown]
	v_cvt_f32_u32_e32 v47, v21
	v_mad_u32_u24 v22, v21, s34, v38
	v_cvt_f32_u32_e32 v48, v43
	v_mad_u32_u24 v21, v43, s34, v38
	v_cvt_f32_u32_e32 v43, v44
	v_add_u32_e32 v20, v42, v35
	v_cvt_f32_u32_e32 v45, v20
	v_mad_u32_u24 v23, v20, s34, v38
	v_mad_u32_u24 v20, v44, s34, v38
	v_cvt_f16_f32_e32 v44, v48
	v_cvt_f16_f32_e32 v43, v43
	;; [unrolled: 1-line block ×4, first 2 shown]
	v_sub_f16_e32 v49, 0xd800, v44
	v_sub_f16_e32 v50, 0xd800, v43
	v_mul_u32_u24_e32 v54, 0x10001, v49
	v_mul_u32_u24_e32 v53, 0x10001, v50
	v_sub_f16_e32 v47, 0xd800, v46
	v_sub_f16_e32 v48, 0xd800, v45
	v_mul_u32_u24_e32 v57, 0x10001, v47
	v_mul_u32_u24_e32 v56, 0x10001, v48
	s_add_i32 s18, s31, 0x400
	s_add_i32 s27, s27, 32
	v_lshl_add_u64 v[16:17], v[16:17], 0, s[6:7]
	s_waitcnt vmcnt(2)
	v_and_b32_e32 v49, 0x70007, v8
	v_and_b32_e32 v50, 0x380038, v8
	v_or_b32_e32 v59, 0x64006400, v49
	s_waitcnt vmcnt(0)
	v_and_b32_e32 v89, 0x70007, v2
	v_and_b32_e32 v90, 0x380038, v2
	v_lshrrev_b32_e32 v92, 6, v2
	v_lshrrev_b32_e32 v103, 13, v2
	v_mov_b32_e32 v2, s31
	v_or_b32_e32 v63, 0x64006400, v50
	v_and_b32_e32 v49, 0x70007, v0
	v_and_b32_e32 v50, 0x380038, v0
	v_lshrrev_b32_e32 v101, 6, v0
	v_lshrrev_b32_e32 v105, 13, v0
	v_and_b32_e32 v87, 0x70007, v1
	v_and_b32_e32 v88, 0x380038, v1
	v_lshrrev_b32_e32 v100, 6, v1
	v_lshrrev_b32_e32 v104, 13, v1
	ds_read2_b32 v[0:1], v2 offset1:1
	v_and_b32_e32 v51, 0x70007, v9
	v_and_b32_e32 v61, 0x70007, v11
	v_lshrrev_b32_e32 v47, 6, v8
	v_lshrrev_b32_e32 v55, 15, v8
	v_and_b32_e32 v52, 0x380038, v9
	v_lshrrev_b32_e32 v48, 6, v9
	v_lshrrev_b32_e32 v60, 15, v9
	v_and_b32_e32 v9, 0x70007, v10
	v_and_b32_e32 v58, 0x380038, v10
	v_lshrrev_b32_e32 v69, 6, v10
	v_lshrrev_b32_e32 v65, 15, v10
	v_and_b32_e32 v62, 0x380038, v11
	v_lshrrev_b32_e32 v10, 6, v11
	v_lshrrev_b32_e32 v66, 15, v11
	v_and_b32_e32 v8, 0x70007, v4
	v_and_b32_e32 v11, 0x380038, v4
	v_lshrrev_b32_e32 v75, 6, v4
	v_lshrrev_b32_e32 v91, 14, v4
	v_or_b32_e32 v51, 0x64006400, v51
	v_and_b32_e32 v79, 0x70007, v6
	v_and_b32_e32 v72, 0x380038, v6
	v_lshrrev_b32_e32 v93, 6, v6
	v_lshrrev_b32_e32 v83, 14, v6
	v_pk_add_f16 v4, v23, v59
	v_or_b32_e32 v6, 0x64006400, v61
	v_or_b32_e32 v52, 0x64006400, v52
	v_and_b32_e32 v70, 0x70007, v5
	v_and_b32_e32 v71, 0x380038, v5
	v_lshrrev_b32_e32 v76, 6, v5
	v_lshrrev_b32_e32 v84, 14, v5
	v_or_b32_e32 v9, 0x64006400, v9
	v_or_b32_e32 v64, 0x64006400, v58
	v_pk_fma_f16 v5, v63, s36, v57 op_sel_hi:[1,0,1]
	v_pk_add_f16 v58, v22, v51
	v_pk_add_f16 v61, v20, v6
	s_waitcnt lgkmcnt(0)
	v_pk_fma_f16 v6, v4, v0, 0
	v_and_b32_e32 v80, 0x70007, v7
	v_and_b32_e32 v81, 0x380038, v7
	v_pk_fma_f16 v59, v52, s36, v56 op_sel_hi:[1,0,1]
	v_pk_add_f16 v51, v21, v9
	v_lshrrev_b32_e32 v94, 6, v7
	v_lshrrev_b32_e32 v107, 14, v7
	v_or_b32_e32 v7, 0x64006400, v62
	v_pk_fma_f16 v9, v5, v1, v6
	v_pk_fma_f16 v6, v58, v0, 0
	v_pk_fma_f16 v52, v64, s36, v54 op_sel_hi:[1,0,1]
	v_pk_fma_f16 v62, v7, s36, v53 op_sel_hi:[1,0,1]
	v_pk_fma_f16 v77, v59, v1, v6
	v_pk_fma_f16 v6, v51, v0, 0
	;; [unrolled: 1-line block ×5, first 2 shown]
	v_and_b32_e32 v1, 0x70007, v47
	v_or_b32_e32 v1, 0x64006400, v1
	v_and_b32_e32 v6, 0x380038, v47
	v_or_b32_e32 v7, 0x64006400, v6
	v_pk_add_f16 v6, v23, v1
	v_and_b32_e32 v1, 0x70007, v48
	v_or_b32_e32 v1, 0x64006400, v1
	v_and_b32_e32 v63, 0x380038, v48
	v_or_b32_e32 v63, 0x64006400, v63
	v_pk_add_f16 v73, v22, v1
	v_and_b32_e32 v1, 0x70007, v69
	v_pk_fma_f16 v74, v63, s36, v56 op_sel_hi:[1,0,1]
	v_or_b32_e32 v1, 0x64006400, v1
	v_and_b32_e32 v63, 0x380038, v69
	ds_read2_b32 v[98:99], v2 offset0:2 offset1:3
	ds_read2_b32 v[110:111], v2 offset0:4 offset1:5
	;; [unrolled: 1-line block ×3, first 2 shown]
	v_or_b32_e32 v63, 0x64006400, v63
	v_pk_add_f16 v67, v21, v1
	v_and_b32_e32 v1, 0x70007, v10
	v_pk_fma_f16 v68, v63, s36, v54 op_sel_hi:[1,0,1]
	v_or_b32_e32 v1, 0x64006400, v1
	v_and_b32_e32 v63, 0x380038, v10
	v_or_b32_e32 v64, 0x64006400, v63
	v_pk_add_f16 v63, v20, v1
	v_pk_fma_f16 v64, v64, s36, v53 op_sel_hi:[1,0,1]
	s_waitcnt lgkmcnt(2)
	v_pk_fma_f16 v0, v63, v98, v0
	v_pk_fma_f16 v7, v7, s36, v57 op_sel_hi:[1,0,1]
	v_pk_fma_f16 v1, v6, v98, v9
	v_pk_fma_f16 v97, v64, v99, v0
	v_sub_f16_e32 v0, 0xcc00, v46
	v_pk_fma_f16 v82, v7, v99, v1
	v_pk_fma_f16 v1, v73, v98, v77
	v_mul_u32_u24_e32 v106, 0x10001, v0
	v_sub_f16_e32 v0, 0xcc00, v45
	v_pk_fma_f16 v85, v74, v99, v1
	v_pk_fma_f16 v1, v67, v98, v78
	v_mul_u32_u24_e32 v109, 0x10001, v0
	v_sub_f16_e32 v0, 0xcc00, v44
	v_and_b32_e32 v9, 0x1c001c0, v47
	v_pk_fma_f16 v86, v68, v99, v1
	v_mul_u32_u24_e32 v1, 0x10001, v0
	v_sub_f16_e32 v0, 0xcc00, v43
	v_or_b32_e32 v9, 0x64006400, v9
	v_or_b32_e32 v43, 0x64006400, v8
	v_pk_fma_f16 v8, v9, s37, v106 op_sel_hi:[1,0,1]
	v_pk_add_f16 v9, v23, v43
	v_and_b32_e32 v43, 0x1c001c0, v48
	v_or_b32_e32 v43, 0x64006400, v43
	v_pk_fma_f16 v77, v43, s37, v109 op_sel_hi:[1,0,1]
	v_and_b32_e32 v43, 0x1c001c0, v69
	v_and_b32_e32 v10, 0x1c001c0, v10
	v_mul_u32_u24_e32 v0, 0x10001, v0
	v_or_b32_e32 v43, 0x64006400, v43
	v_or_b32_e32 v10, 0x64006400, v10
	;; [unrolled: 1-line block ×3, first 2 shown]
	v_pk_fma_f16 v69, v43, s37, v1 op_sel_hi:[1,0,1]
	v_pk_fma_f16 v43, v10, s37, v0 op_sel_hi:[1,0,1]
	s_waitcnt lgkmcnt(1)
	v_pk_fma_f16 v10, v8, v110, v82
	v_pk_add_f16 v78, v22, v44
	v_or_b32_e32 v44, 0x64006400, v79
	v_pk_fma_f16 v47, v9, v111, v10
	v_pk_fma_f16 v10, v77, v110, v85
	v_pk_add_f16 v70, v21, v44
	v_or_b32_e32 v44, 0x64006400, v80
	v_pk_fma_f16 v48, v78, v111, v10
	v_pk_fma_f16 v10, v69, v110, v86
	v_pk_add_f16 v44, v20, v44
	v_pk_fma_f16 v82, v70, v111, v10
	v_pk_fma_f16 v10, v43, v110, v97
	v_and_b32_e32 v46, 0x70007, v76
	v_pk_fma_f16 v85, v44, v111, v10
	v_or_b32_e32 v10, 0x64006400, v11
	v_and_b32_e32 v11, 0x70007, v75
	v_or_b32_e32 v45, 0x64006400, v11
	v_or_b32_e32 v46, 0x64006400, v46
	v_pk_fma_f16 v11, v10, s36, v57 op_sel_hi:[1,0,1]
	v_pk_add_f16 v10, v23, v45
	v_or_b32_e32 v45, 0x64006400, v71
	v_pk_add_f16 v80, v22, v46
	v_and_b32_e32 v46, 0x70007, v93
	v_pk_fma_f16 v79, v45, s36, v56 op_sel_hi:[1,0,1]
	v_or_b32_e32 v45, 0x64006400, v72
	v_or_b32_e32 v46, 0x64006400, v46
	s_waitcnt lgkmcnt(0)
	v_pk_fma_f16 v47, v11, v112, v47
	v_pk_fma_f16 v71, v45, s36, v54 op_sel_hi:[1,0,1]
	v_pk_add_f16 v72, v21, v46
	v_or_b32_e32 v45, 0x64006400, v81
	v_and_b32_e32 v46, 0x70007, v94
	v_pk_fma_f16 v97, v10, v113, v47
	v_pk_fma_f16 v47, v79, v112, v48
	v_or_b32_e32 v46, 0x64006400, v46
	v_pk_fma_f16 v45, v45, s36, v53 op_sel_hi:[1,0,1]
	v_pk_fma_f16 v102, v80, v113, v47
	v_pk_fma_f16 v47, v71, v112, v82
	v_pk_add_f16 v46, v20, v46
	v_pk_fma_f16 v116, v72, v113, v47
	v_pk_fma_f16 v47, v45, v112, v85
	v_and_b32_e32 v48, 0x1c001c0, v75
	v_pk_fma_f16 v117, v46, v113, v47
	v_and_b32_e32 v47, 0x380038, v75
	v_or_b32_e32 v47, 0x64006400, v47
	ds_read2_b32 v[98:99], v2 offset0:8 offset1:9
	v_or_b32_e32 v48, 0x64006400, v48
	v_pk_fma_f16 v85, v47, s36, v57 op_sel_hi:[1,0,1]
	v_and_b32_e32 v47, 0x380038, v76
	v_pk_fma_f16 v86, v48, s37, v106 op_sel_hi:[1,0,1]
	v_or_b32_e32 v47, 0x64006400, v47
	v_and_b32_e32 v48, 0x1c001c0, v76
	v_or_b32_e32 v48, 0x64006400, v48
	v_pk_fma_f16 v81, v47, s36, v56 op_sel_hi:[1,0,1]
	v_and_b32_e32 v47, 0x380038, v93
	v_pk_fma_f16 v82, v48, s37, v109 op_sel_hi:[1,0,1]
	v_or_b32_e32 v47, 0x64006400, v47
	v_and_b32_e32 v48, 0x1c001c0, v93
	v_or_b32_e32 v48, 0x64006400, v48
	v_pk_fma_f16 v75, v47, s36, v54 op_sel_hi:[1,0,1]
	v_and_b32_e32 v47, 0x380038, v94
	s_waitcnt lgkmcnt(0)
	v_pk_fma_f16 v93, v85, v98, v97
	v_pk_fma_f16 v76, v48, s37, v1 op_sel_hi:[1,0,1]
	v_or_b32_e32 v47, 0x64006400, v47
	v_and_b32_e32 v48, 0x1c001c0, v94
	ds_read2_b32 v[110:111], v2 offset0:10 offset1:11
	ds_read2_b32 v[112:113], v2 offset0:12 offset1:13
	;; [unrolled: 1-line block ×3, first 2 shown]
	v_pk_fma_f16 v118, v86, v99, v93
	v_pk_fma_f16 v93, v81, v98, v102
	v_or_b32_e32 v48, 0x64006400, v48
	v_pk_fma_f16 v47, v47, s36, v53 op_sel_hi:[1,0,1]
	v_pk_fma_f16 v102, v82, v99, v93
	v_pk_fma_f16 v93, v75, v98, v116
	v_or_b32_e32 v49, 0x64006400, v49
	v_pk_fma_f16 v48, v48, s37, v0 op_sel_hi:[1,0,1]
	v_pk_fma_f16 v116, v76, v99, v93
	v_pk_fma_f16 v93, v47, v98, v117
	v_or_b32_e32 v50, 0x64006400, v50
	v_pk_add_f16 v97, v23, v49
	v_or_b32_e32 v49, 0x64006400, v87
	v_and_b32_e32 v95, 0x70007, v3
	v_pk_fma_f16 v99, v48, v99, v93
	v_pk_fma_f16 v98, v50, s36, v57 op_sel_hi:[1,0,1]
	v_or_b32_e32 v50, 0x64006400, v88
	v_pk_add_f16 v93, v22, v49
	v_or_b32_e32 v49, 0x64006400, v89
	s_waitcnt lgkmcnt(2)
	v_pk_fma_f16 v89, v97, v110, v118
	v_and_b32_e32 v96, 0x380038, v3
	v_pk_fma_f16 v94, v50, s36, v56 op_sel_hi:[1,0,1]
	v_or_b32_e32 v50, 0x64006400, v90
	v_pk_add_f16 v87, v21, v49
	v_or_b32_e32 v49, 0x64006400, v95
	v_pk_fma_f16 v117, v98, v111, v89
	v_pk_fma_f16 v89, v93, v110, v102
	v_pk_fma_f16 v88, v50, s36, v54 op_sel_hi:[1,0,1]
	v_or_b32_e32 v50, 0x64006400, v96
	v_pk_add_f16 v49, v20, v49
	v_pk_fma_f16 v118, v94, v111, v89
	v_pk_fma_f16 v89, v87, v110, v116
	v_pk_fma_f16 v50, v50, s36, v53 op_sel_hi:[1,0,1]
	v_pk_fma_f16 v116, v88, v111, v89
	v_pk_fma_f16 v89, v49, v110, v99
	v_lshrrev_b32_e32 v108, 6, v3
	v_pk_fma_f16 v110, v50, v111, v89
	v_and_b32_e32 v89, 0x380038, v101
	v_or_b32_e32 v89, 0x64006400, v89
	v_pk_fma_f16 v99, v89, s36, v57 op_sel_hi:[1,0,1]
	v_and_b32_e32 v57, 0x380038, v100
	v_or_b32_e32 v57, 0x64006400, v57
	v_pk_fma_f16 v95, v57, s36, v56 op_sel_hi:[1,0,1]
	;; [unrolled: 3-line block ×4, first 2 shown]
	v_and_b32_e32 v54, 0x70007, v101
	v_or_b32_e32 v54, 0x64006400, v54
	v_pk_add_f16 v102, v23, v54
	v_and_b32_e32 v54, 0x70007, v100
	v_or_b32_e32 v54, 0x64006400, v54
	v_pk_add_f16 v96, v22, v54
	;; [unrolled: 3-line block ×3, first 2 shown]
	v_and_b32_e32 v54, 0x70007, v108
	s_waitcnt lgkmcnt(1)
	v_pk_fma_f16 v56, v102, v112, v117
	v_or_b32_e32 v54, 0x64006400, v54
	v_pk_fma_f16 v57, v99, v113, v56
	v_pk_fma_f16 v56, v96, v112, v118
	v_pk_add_f16 v54, v20, v54
	v_pk_fma_f16 v111, v95, v113, v56
	v_pk_fma_f16 v56, v90, v112, v116
	v_lshrrev_b32_e32 v3, 13, v3
	v_pk_fma_f16 v116, v89, v113, v56
	v_pk_fma_f16 v56, v54, v112, v110
	v_and_b32_e32 v3, 0x40004, v3
	v_pk_fma_f16 v110, v53, v113, v56
	v_and_b32_e32 v56, 0x20002, v91
	v_and_or_b32 v55, v55, s34, v56
	v_and_b32_e32 v56, 0x40004, v105
	v_or3_b32 v55, v55, v56, s35
	v_and_b32_e32 v56, 0x1c001c0, v101
	v_or_b32_e32 v56, 0x64006400, v56
	v_pk_fma_f16 v105, v56, s37, v106 op_sel_hi:[1,0,1]
	v_pk_add_f16 v106, v23, v55
	v_and_b32_e32 v23, 0x20002, v84
	v_and_or_b32 v23, v60, s34, v23
	v_and_b32_e32 v55, 0x40004, v104
	v_or3_b32 v23, v23, v55, s35
	v_pk_add_f16 v101, v22, v23
	v_and_b32_e32 v22, 0x20002, v83
	v_and_or_b32 v22, v65, s34, v22
	v_and_b32_e32 v23, 0x40004, v103
	v_or3_b32 v22, v22, v23, s35
	v_and_b32_e32 v23, 0x1c001c0, v92
	v_or_b32_e32 v23, 0x64006400, v23
	v_pk_fma_f16 v91, v23, s37, v1 op_sel_hi:[1,0,1]
	v_and_b32_e32 v1, 0x20002, v107
	v_and_or_b32 v1, v66, s34, v1
	v_and_b32_e32 v55, 0x1c001c0, v100
	v_or3_b32 v1, v1, v3, s35
	v_and_b32_e32 v3, 0x1c001c0, v108
	v_or_b32_e32 v55, 0x64006400, v55
	v_or_b32_e32 v3, 0x64006400, v3
	v_pk_fma_f16 v100, v55, s37, v109 op_sel_hi:[1,0,1]
	v_pk_fma_f16 v55, v3, s37, v0 op_sel_hi:[1,0,1]
	s_waitcnt lgkmcnt(0)
	v_pk_fma_f16 v0, v105, v114, v57
	v_pk_add_f16 v92, v21, v22
	v_pk_fma_f16 v103, v106, v115, v0
	v_pk_fma_f16 v0, v100, v114, v111
	v_pk_add_f16 v56, v20, v1
	v_pk_fma_f16 v104, v101, v115, v0
	v_pk_fma_f16 v0, v91, v114, v116
	;; [unrolled: 1-line block ×4, first 2 shown]
	ds_read2_b32 v[0:1], v2 offset0:64 offset1:65
	ds_read2_b32 v[20:21], v2 offset0:66 offset1:67
	;; [unrolled: 1-line block ×4, first 2 shown]
	v_pk_fma_f16 v60, v56, v115, v3
	s_waitcnt lgkmcnt(3)
	v_pk_fma_f16 v3, v4, v0, 0
	s_nop 0
	v_pk_fma_f16 v3, v5, v1, v3
	v_pk_fma_f16 v65, v58, v0, 0
	v_pk_fma_f16 v66, v51, v0, 0
	v_pk_fma_f16 v0, v61, v0, 0
	v_pk_fma_f16 v65, v59, v1, v65
	v_pk_fma_f16 v66, v52, v1, v66
	v_pk_fma_f16 v0, v62, v1, v0
	s_waitcnt lgkmcnt(2)
	v_pk_fma_f16 v1, v6, v20, v3
	v_pk_fma_f16 v3, v73, v20, v65
	v_pk_fma_f16 v1, v7, v21, v1
	v_pk_fma_f16 v3, v74, v21, v3
	v_pk_fma_f16 v65, v67, v20, v66
	s_waitcnt lgkmcnt(1)
	v_pk_fma_f16 v1, v8, v22, v1
	v_pk_fma_f16 v65, v68, v21, v65
	v_pk_fma_f16 v0, v63, v20, v0
	v_pk_fma_f16 v1, v9, v23, v1
	v_pk_fma_f16 v3, v77, v22, v3
	v_pk_fma_f16 v0, v64, v21, v0
	v_pk_fma_f16 v3, v78, v23, v3
	v_pk_fma_f16 v20, v69, v22, v65
	s_waitcnt lgkmcnt(0)
	v_pk_fma_f16 v1, v11, v108, v1
	v_pk_fma_f16 v20, v70, v23, v20
	v_pk_fma_f16 v0, v43, v22, v0
	v_pk_fma_f16 v65, v10, v109, v1
	v_pk_fma_f16 v1, v79, v108, v3
	v_pk_fma_f16 v0, v44, v23, v0
	v_pk_fma_f16 v3, v80, v109, v1
	v_pk_fma_f16 v1, v71, v108, v20
	v_pk_fma_f16 v20, v45, v108, v0
	v_pk_fma_f16 v66, v72, v109, v1
	ds_read2_b32 v[0:1], v2 offset0:72 offset1:73
	v_pk_fma_f16 v83, v46, v109, v20
	ds_read2_b32 v[20:21], v2 offset0:74 offset1:75
	ds_read2_b32 v[22:23], v2 offset0:76 offset1:77
	ds_read2_b32 v[112:113], v2 offset0:78 offset1:79
	s_waitcnt lgkmcnt(3)
	v_pk_fma_f16 v65, v85, v0, v65
	s_nop 0
	v_pk_fma_f16 v65, v86, v1, v65
	v_pk_fma_f16 v3, v81, v0, v3
	v_pk_fma_f16 v66, v75, v0, v66
	v_pk_fma_f16 v0, v47, v0, v83
	v_pk_fma_f16 v3, v82, v1, v3
	v_pk_fma_f16 v66, v76, v1, v66
	v_pk_fma_f16 v0, v48, v1, v0
	s_waitcnt lgkmcnt(2)
	v_pk_fma_f16 v1, v97, v20, v65
	v_pk_fma_f16 v3, v93, v20, v3
	v_pk_fma_f16 v1, v98, v21, v1
	v_pk_fma_f16 v3, v94, v21, v3
	v_pk_fma_f16 v65, v87, v20, v66
	s_waitcnt lgkmcnt(1)
	v_pk_fma_f16 v1, v102, v22, v1
	v_pk_fma_f16 v65, v88, v21, v65
	v_pk_fma_f16 v0, v49, v20, v0
	v_pk_fma_f16 v1, v99, v23, v1
	v_pk_fma_f16 v3, v96, v22, v3
	v_pk_fma_f16 v0, v50, v21, v0
	v_pk_fma_f16 v3, v95, v23, v3
	v_pk_fma_f16 v20, v90, v22, v65
	s_waitcnt lgkmcnt(0)
	v_pk_fma_f16 v1, v105, v112, v1
	v_pk_fma_f16 v20, v89, v23, v20
	v_pk_fma_f16 v0, v54, v22, v0
	v_pk_fma_f16 v109, v106, v113, v1
	v_pk_fma_f16 v1, v100, v112, v3
	v_pk_fma_f16 v0, v53, v23, v0
	v_pk_fma_f16 v110, v101, v113, v1
	v_pk_fma_f16 v1, v91, v112, v20
	v_pk_fma_f16 v3, v55, v112, v0
	v_pk_fma_f16 v65, v92, v113, v1
	ds_read2_b32 v[0:1], v2 offset0:128 offset1:129
	v_pk_fma_f16 v66, v56, v113, v3
	ds_read2_b32 v[20:21], v2 offset0:130 offset1:131
	ds_read2_b32 v[22:23], v2 offset0:132 offset1:133
	ds_read2_b32 v[112:113], v2 offset0:134 offset1:135
	;; [unrolled: 41-line block ×5, first 2 shown]
	s_waitcnt lgkmcnt(3)
	v_pk_fma_f16 v107, v85, v0, v107
	s_nop 0
	v_pk_fma_f16 v107, v86, v1, v107
	v_pk_fma_f16 v108, v81, v0, v108
	;; [unrolled: 1-line block ×7, first 2 shown]
	s_waitcnt lgkmcnt(2)
	v_pk_fma_f16 v1, v97, v20, v107
	v_pk_fma_f16 v107, v93, v20, v108
	;; [unrolled: 1-line block ×7, first 2 shown]
	s_waitcnt lgkmcnt(1)
	v_pk_fma_f16 v1, v102, v22, v1
	v_pk_fma_f16 v108, v88, v21, v108
	;; [unrolled: 1-line block ×8, first 2 shown]
	s_waitcnt lgkmcnt(0)
	v_pk_fma_f16 v1, v105, v2, v1
	v_pk_fma_f16 v21, v89, v23, v21
	;; [unrolled: 1-line block ×8, first 2 shown]
	v_mov_b32_e32 v0, s18
	v_pk_fma_f16 v107, v92, v3, v1
	ds_read2_b32 v[0:1], v0 offset1:1
	s_add_i32 s18, s31, 0x408
	v_mov_b32_e32 v2, s18
	s_add_i32 s18, s31, 0x410
	v_mov_b32_e32 v20, s18
	;; [unrolled: 2-line block ×3, first 2 shown]
	ds_read2_b32 v[2:3], v2 offset1:1
	ds_read2_b32 v[20:21], v20 offset1:1
	;; [unrolled: 1-line block ×3, first 2 shown]
	s_waitcnt lgkmcnt(3)
	v_pk_fma_f16 v111, v4, v0, 0
	v_pk_fma_f16 v112, v58, v0, 0
	;; [unrolled: 1-line block ×8, first 2 shown]
	s_waitcnt lgkmcnt(2)
	v_pk_fma_f16 v1, v6, v2, v111
	v_pk_fma_f16 v111, v73, v2, v112
	;; [unrolled: 1-line block ×7, first 2 shown]
	s_waitcnt lgkmcnt(1)
	v_pk_fma_f16 v1, v8, v20, v1
	v_pk_fma_f16 v112, v68, v3, v112
	;; [unrolled: 1-line block ×8, first 2 shown]
	s_waitcnt lgkmcnt(0)
	v_pk_fma_f16 v1, v11, v22, v1
	v_pk_fma_f16 v3, v70, v21, v3
	;; [unrolled: 1-line block ×5, first 2 shown]
	s_add_i32 s18, s31, 0x420
	v_pk_fma_f16 v112, v80, v23, v1
	v_pk_fma_f16 v1, v71, v22, v3
	;; [unrolled: 1-line block ×3, first 2 shown]
	v_mov_b32_e32 v0, s18
	v_pk_fma_f16 v117, v72, v23, v1
	ds_read2_b32 v[0:1], v0 offset1:1
	s_add_i32 s18, s31, 0x428
	v_mov_b32_e32 v2, s18
	s_add_i32 s18, s31, 0x430
	v_mov_b32_e32 v20, s18
	;; [unrolled: 2-line block ×3, first 2 shown]
	ds_read2_b32 v[2:3], v2 offset1:1
	ds_read2_b32 v[20:21], v20 offset1:1
	;; [unrolled: 1-line block ×3, first 2 shown]
	s_waitcnt lgkmcnt(3)
	v_pk_fma_f16 v111, v85, v0, v111
	v_pk_fma_f16 v112, v81, v0, v112
	;; [unrolled: 1-line block ×8, first 2 shown]
	s_waitcnt lgkmcnt(2)
	v_pk_fma_f16 v1, v97, v2, v111
	v_pk_fma_f16 v111, v93, v2, v112
	;; [unrolled: 1-line block ×7, first 2 shown]
	s_waitcnt lgkmcnt(1)
	v_pk_fma_f16 v1, v102, v20, v1
	v_pk_fma_f16 v112, v88, v3, v112
	;; [unrolled: 1-line block ×8, first 2 shown]
	s_waitcnt lgkmcnt(0)
	v_pk_fma_f16 v1, v105, v22, v1
	v_pk_fma_f16 v3, v89, v21, v3
	;; [unrolled: 1-line block ×5, first 2 shown]
	s_add_i32 s18, s31, 0x500
	v_pk_fma_f16 v118, v101, v23, v1
	v_pk_fma_f16 v1, v91, v22, v3
	;; [unrolled: 1-line block ×3, first 2 shown]
	v_mov_b32_e32 v0, s18
	v_pk_fma_f16 v111, v92, v23, v1
	ds_read2_b32 v[22:23], v0 offset1:1
	s_add_i32 s18, s31, 0x508
	v_mov_b32_e32 v0, s18
	s_add_i32 s18, s31, 0x510
	v_mov_b32_e32 v1, s18
	;; [unrolled: 2-line block ×3, first 2 shown]
	ds_read2_b32 v[20:21], v0 offset1:1
	ds_read2_b32 v[0:1], v1 offset1:1
	;; [unrolled: 1-line block ×3, first 2 shown]
	s_waitcnt lgkmcnt(3)
	v_pk_fma_f16 v4, v4, v22, 0
	v_pk_fma_f16 v58, v58, v22, 0
	;; [unrolled: 1-line block ×4, first 2 shown]
	s_waitcnt lgkmcnt(2)
	v_pk_fma_f16 v4, v6, v20, v4
	v_pk_fma_f16 v22, v61, v22, 0
	;; [unrolled: 1-line block ×3, first 2 shown]
	s_add_i32 s18, s31, 0x520
	s_waitcnt lgkmcnt(1)
	v_pk_fma_f16 v4, v8, v0, v4
	v_pk_fma_f16 v58, v59, v23, v58
	v_pk_fma_f16 v4, v9, v1, v4
	v_pk_fma_f16 v51, v52, v23, v51
	s_waitcnt lgkmcnt(0)
	v_pk_fma_f16 v4, v11, v2, v4
	v_pk_fma_f16 v22, v62, v23, v22
	;; [unrolled: 1-line block ×3, first 2 shown]
	v_mov_b32_e32 v4, s18
	v_pk_fma_f16 v58, v73, v20, v58
	v_pk_fma_f16 v51, v67, v20, v51
	;; [unrolled: 1-line block ×3, first 2 shown]
	ds_read2_b32 v[4:5], v4 offset1:1
	v_pk_fma_f16 v58, v74, v21, v58
	v_pk_fma_f16 v51, v68, v21, v51
	v_pk_fma_f16 v20, v64, v21, v20
	s_add_i32 s18, s31, 0x528
	v_pk_fma_f16 v58, v77, v0, v58
	v_pk_fma_f16 v51, v69, v0, v51
	;; [unrolled: 1-line block ×3, first 2 shown]
	v_mov_b32_e32 v6, s18
	s_add_i32 s18, s31, 0x530
	v_pk_fma_f16 v58, v78, v1, v58
	v_pk_fma_f16 v51, v70, v1, v51
	;; [unrolled: 1-line block ×3, first 2 shown]
	v_mov_b32_e32 v7, s18
	s_add_i32 s18, s31, 0x538
	v_pk_fma_f16 v58, v79, v2, v58
	v_pack_b32_f16 v59, v103, v104
	v_perm_b32 v73, v104, v103, s38
	v_pk_fma_f16 v51, v71, v2, v51
	v_pk_fma_f16 v0, v45, v2, v0
	v_pack_b32_f16 v1, v57, v60
	v_perm_b32 v2, v60, v57, s38
	v_mov_b32_e32 v120, s18
	ds_read2_b32 v[10:11], v6 offset1:1
	ds_read2_b32 v[8:9], v7 offset1:1
	;; [unrolled: 1-line block ×3, first 2 shown]
	v_pk_fma_f16 v58, v80, v3, v58
	v_pk_add_f16 v59, v59, v73
	v_pk_fma_f16 v51, v72, v3, v51
	v_pk_fma_f16 v0, v46, v3, v0
	v_pk_add_f16 v1, v1, v2
	s_waitcnt lgkmcnt(3)
	v_pk_fma_f16 v85, v85, v4, v119
	v_pk_fma_f16 v58, v81, v4, v58
	v_pk_fma_f16 v34, v59, v18, v34
	v_pack_b32_f16 v59, v109, v110
	v_perm_b32 v73, v110, v109, s38
	v_pk_fma_f16 v51, v75, v4, v51
	v_pk_fma_f16 v0, v47, v4, v0
	v_pk_fma_f16 v33, v1, v19, v33
	v_pack_b32_f16 v1, v65, v66
	v_perm_b32 v2, v66, v65, s38
	v_pk_fma_f16 v85, v86, v5, v85
	v_pk_fma_f16 v58, v82, v5, v58
	v_pk_add_f16 v59, v59, v73
	v_pk_fma_f16 v51, v76, v5, v51
	v_pk_fma_f16 v0, v48, v5, v0
	v_pk_add_f16 v1, v1, v2
	s_waitcnt lgkmcnt(2)
	v_pk_fma_f16 v85, v97, v10, v85
	v_pk_fma_f16 v58, v93, v10, v58
	v_pk_fma_f16 v32, v59, v18, v32
	v_pack_b32_f16 v59, v113, v114
	v_perm_b32 v73, v114, v113, s38
	v_pk_fma_f16 v51, v87, v10, v51
	v_pk_fma_f16 v0, v49, v10, v0
	v_pk_fma_f16 v30, v1, v19, v30
	v_pack_b32_f16 v1, v83, v84
	v_perm_b32 v2, v84, v83, s38
	v_pk_fma_f16 v85, v98, v11, v85
	;; [unrolled: 17-line block ×4, first 2 shown]
	v_pk_fma_f16 v58, v101, v7, v58
	v_pk_add_f16 v59, v59, v73
	v_pk_fma_f16 v51, v92, v7, v51
	v_pk_fma_f16 v0, v56, v7, v0
	v_pk_add_f16 v1, v1, v2
	v_pk_fma_f16 v25, v59, v18, v25
	v_pack_b32_f16 v59, v85, v58
	v_perm_b32 v58, v58, v85, s38
	v_pk_fma_f16 v24, v1, v19, v24
	v_pack_b32_f16 v1, v51, v0
	v_perm_b32 v0, v0, v51, s38
	v_pk_add_f16 v58, v59, v58
	v_pk_add_f16 v0, v1, v0
	s_add_i32 s31, s31, 64
	v_pk_fma_f16 v15, v58, v18, v15
	v_pk_fma_f16 v13, v0, v19, v13
	s_cmp_ge_i32 s27, s28
	s_cbranch_scc1 .LBB36_52
.LBB36_35:                              ; =>This Inner Loop Header: Depth=1
	s_cmp_lg_u32 s27, s33
	s_cbranch_scc1 .LBB36_34
; %bb.36:                               ;   in Loop: Header=BB36_35 Depth=1
	s_add_i32 s30, s30, 1
	s_mul_i32 s39, s30, s16
	s_ashr_i32 s18, s39, 31
	s_lshr_b32 s18, s18, 27
	s_add_i32 s18, s39, s18
	s_ashr_i32 s18, s18, 5
	v_mad_u64_u32 v[0:1], s[18:19], s18, 3, v[14:15]
	v_ashrrev_i32_e32 v1, 31, v0
	v_lshl_add_u64 v[0:1], v[0:1], 2, s[10:11]
	global_load_dword v3, v[0:1], off
                                        ; implicit-def: $vgpr2
	s_and_saveexec_b64 s[18:19], vcc
	s_xor_b64 s[18:19], exec, s[18:19]
	s_cbranch_execz .LBB36_50
; %bb.37:                               ;   in Loop: Header=BB36_35 Depth=1
                                        ; implicit-def: $vgpr2
	s_and_saveexec_b64 s[20:21], s[0:1]
	s_xor_b64 s[20:21], exec, s[20:21]
	s_cbranch_execz .LBB36_47
; %bb.38:                               ;   in Loop: Header=BB36_35 Depth=1
                                        ; implicit-def: $vgpr2
	s_and_saveexec_b64 s[22:23], s[2:3]
	s_xor_b64 s[22:23], exec, s[22:23]
	s_cbranch_execz .LBB36_44
; %bb.39:                               ;   in Loop: Header=BB36_35 Depth=1
                                        ; implicit-def: $vgpr2
	s_and_saveexec_b64 s[24:25], s[4:5]
	s_xor_b64 s[24:25], exec, s[24:25]
	s_cbranch_execz .LBB36_41
; %bb.40:                               ;   in Loop: Header=BB36_35 Depth=1
	s_waitcnt vmcnt(0)
	v_lshrrev_b32_e32 v2, v36, v3
                                        ; implicit-def: $vgpr0_vgpr1
                                        ; implicit-def: $vgpr3
.LBB36_41:                              ;   in Loop: Header=BB36_35 Depth=1
	s_andn2_saveexec_b64 s[24:25], s[24:25]
	s_cbranch_execz .LBB36_43
; %bb.42:                               ;   in Loop: Header=BB36_35 Depth=1
	global_load_dword v0, v[0:1], off offset:4
	s_waitcnt vmcnt(0)
	v_alignbit_b32 v0, v0, v3, 28
	v_and_b32_e32 v2, 0xfff, v0
.LBB36_43:                              ;   in Loop: Header=BB36_35 Depth=1
	s_or_b64 exec, exec, s[24:25]
                                        ; implicit-def: $vgpr3
.LBB36_44:                              ;   in Loop: Header=BB36_35 Depth=1
	s_andn2_saveexec_b64 s[22:23], s[22:23]
	s_cbranch_execz .LBB36_46
; %bb.45:                               ;   in Loop: Header=BB36_35 Depth=1
	s_waitcnt vmcnt(0)
	v_lshrrev_b32_e32 v2, v37, v3
.LBB36_46:                              ;   in Loop: Header=BB36_35 Depth=1
	s_or_b64 exec, exec, s[22:23]
                                        ; implicit-def: $vgpr0_vgpr1
                                        ; implicit-def: $vgpr3
.LBB36_47:                              ;   in Loop: Header=BB36_35 Depth=1
	s_andn2_saveexec_b64 s[20:21], s[20:21]
	s_cbranch_execz .LBB36_49
; %bb.48:                               ;   in Loop: Header=BB36_35 Depth=1
	global_load_dword v0, v[0:1], off offset:4
	s_waitcnt vmcnt(0)
	v_perm_b32 v0, v3, v0, s17
	v_and_b32_e32 v2, 0xfff, v0
.LBB36_49:                              ;   in Loop: Header=BB36_35 Depth=1
	s_or_b64 exec, exec, s[20:21]
                                        ; implicit-def: $vgpr3
.LBB36_50:                              ;   in Loop: Header=BB36_35 Depth=1
	s_andn2_saveexec_b64 s[18:19], s[18:19]
	s_cbranch_execz .LBB36_33
; %bb.51:                               ;   in Loop: Header=BB36_35 Depth=1
	s_waitcnt vmcnt(0)
	v_lshrrev_b32_e32 v2, v31, v3
	s_branch .LBB36_33
.LBB36_52:
	s_mul_i32 s26, s26, s16
	v_add_u32_e32 v0, s26, v12
	v_ashrrev_i32_e32 v1, 31, v0
	v_lshl_add_u64 v[2:3], v[0:1], 1, s[14:15]
	global_load_dword v5, v[2:3], off
	s_mov_b64 s[0:1], 0
.LBB36_53:                              ; =>This Inner Loop Header: Depth=1
	s_waitcnt vmcnt(0)
	v_pk_add_f16 v4, v34, v5
	global_atomic_cmpswap v1, v[2:3], v[4:5], off sc0
	s_waitcnt vmcnt(0)
	v_cmp_eq_u32_e32 vcc, v5, v1
	s_or_b64 s[0:1], vcc, s[0:1]
	v_mov_b32_e32 v5, v1
	s_andn2_b64 exec, exec, s[0:1]
	s_cbranch_execnz .LBB36_53
; %bb.54:
	s_or_b64 exec, exec, s[0:1]
	global_load_dword v5, v[2:3], off offset:4
	s_mov_b64 s[0:1], 0
.LBB36_55:                              ; =>This Inner Loop Header: Depth=1
	s_waitcnt vmcnt(0)
	v_pk_add_f16 v4, v33, v5
	global_atomic_cmpswap v1, v[2:3], v[4:5], off offset:4 sc0
	s_waitcnt vmcnt(0)
	v_cmp_eq_u32_e32 vcc, v5, v1
	s_or_b64 s[0:1], vcc, s[0:1]
	v_mov_b32_e32 v5, v1
	s_andn2_b64 exec, exec, s[0:1]
	s_cbranch_execnz .LBB36_55
; %bb.56:
	s_or_b64 exec, exec, s[0:1]
	v_add_u32_e32 v0, s16, v0
	v_ashrrev_i32_e32 v1, 31, v0
	v_lshl_add_u64 v[2:3], v[0:1], 1, s[14:15]
	global_load_dword v5, v[2:3], off
	s_mov_b64 s[0:1], 0
.LBB36_57:                              ; =>This Inner Loop Header: Depth=1
	s_waitcnt vmcnt(0)
	v_pk_add_f16 v4, v32, v5
	global_atomic_cmpswap v1, v[2:3], v[4:5], off sc0
	s_waitcnt vmcnt(0)
	v_cmp_eq_u32_e32 vcc, v5, v1
	s_or_b64 s[0:1], vcc, s[0:1]
	v_mov_b32_e32 v5, v1
	s_andn2_b64 exec, exec, s[0:1]
	s_cbranch_execnz .LBB36_57
; %bb.58:
	s_or_b64 exec, exec, s[0:1]
	global_load_dword v5, v[2:3], off offset:4
	s_mov_b64 s[0:1], 0
.LBB36_59:                              ; =>This Inner Loop Header: Depth=1
	s_waitcnt vmcnt(0)
	v_pk_add_f16 v4, v30, v5
	global_atomic_cmpswap v1, v[2:3], v[4:5], off offset:4 sc0
	s_waitcnt vmcnt(0)
	v_cmp_eq_u32_e32 vcc, v5, v1
	s_or_b64 s[0:1], vcc, s[0:1]
	v_mov_b32_e32 v5, v1
	s_andn2_b64 exec, exec, s[0:1]
	s_cbranch_execnz .LBB36_59
; %bb.60:
	s_or_b64 exec, exec, s[0:1]
	;; [unrolled: 31-line block ×5, first 2 shown]
	v_add_u32_e32 v0, s16, v0
	v_ashrrev_i32_e32 v1, 31, v0
	v_lshl_add_u64 v[0:1], v[0:1], 1, s[14:15]
	global_load_dword v3, v[0:1], off
	s_mov_b64 s[0:1], 0
.LBB36_73:                              ; =>This Inner Loop Header: Depth=1
	s_waitcnt vmcnt(0)
	v_pk_add_f16 v2, v15, v3
	global_atomic_cmpswap v2, v[0:1], v[2:3], off sc0
	s_waitcnt vmcnt(0)
	v_cmp_eq_u32_e32 vcc, v3, v2
	s_or_b64 s[0:1], vcc, s[0:1]
	v_mov_b32_e32 v3, v2
	s_andn2_b64 exec, exec, s[0:1]
	s_cbranch_execnz .LBB36_73
; %bb.74:
	s_or_b64 exec, exec, s[0:1]
	global_load_dword v3, v[0:1], off offset:4
	s_mov_b64 s[0:1], 0
.LBB36_75:                              ; =>This Inner Loop Header: Depth=1
	s_waitcnt vmcnt(0)
	v_pk_add_f16 v2, v13, v3
	global_atomic_cmpswap v2, v[0:1], v[2:3], off offset:4 sc0
	s_waitcnt vmcnt(0)
	v_cmp_eq_u32_e32 vcc, v3, v2
	s_or_b64 s[0:1], vcc, s[0:1]
	v_mov_b32_e32 v3, v2
	s_andn2_b64 exec, exec, s[0:1]
	s_cbranch_execnz .LBB36_75
.LBB36_76:
	s_endpgm
	.section	.rodata,"a",@progbits
	.p2align	6, 0x0
	.amdhsa_kernel _ZN4vllm4gptq33gemm_half_q_half_gptq_3bit_kernelILb1ELi6EEEvPK6__halfPKjS6_S4_PS2_iiiibPKi
		.amdhsa_group_segment_fixed_size 1536
		.amdhsa_private_segment_fixed_size 0
		.amdhsa_kernarg_size 72
		.amdhsa_user_sgpr_count 2
		.amdhsa_user_sgpr_dispatch_ptr 0
		.amdhsa_user_sgpr_queue_ptr 0
		.amdhsa_user_sgpr_kernarg_segment_ptr 1
		.amdhsa_user_sgpr_dispatch_id 0
		.amdhsa_user_sgpr_kernarg_preload_length 0
		.amdhsa_user_sgpr_kernarg_preload_offset 0
		.amdhsa_user_sgpr_private_segment_size 0
		.amdhsa_uses_dynamic_stack 0
		.amdhsa_enable_private_segment 0
		.amdhsa_system_sgpr_workgroup_id_x 1
		.amdhsa_system_sgpr_workgroup_id_y 1
		.amdhsa_system_sgpr_workgroup_id_z 1
		.amdhsa_system_sgpr_workgroup_info 0
		.amdhsa_system_vgpr_workitem_id 0
		.amdhsa_next_free_vgpr 121
		.amdhsa_next_free_sgpr 40
		.amdhsa_accum_offset 124
		.amdhsa_reserve_vcc 1
		.amdhsa_float_round_mode_32 0
		.amdhsa_float_round_mode_16_64 0
		.amdhsa_float_denorm_mode_32 3
		.amdhsa_float_denorm_mode_16_64 3
		.amdhsa_dx10_clamp 1
		.amdhsa_ieee_mode 1
		.amdhsa_fp16_overflow 0
		.amdhsa_tg_split 0
		.amdhsa_exception_fp_ieee_invalid_op 0
		.amdhsa_exception_fp_denorm_src 0
		.amdhsa_exception_fp_ieee_div_zero 0
		.amdhsa_exception_fp_ieee_overflow 0
		.amdhsa_exception_fp_ieee_underflow 0
		.amdhsa_exception_fp_ieee_inexact 0
		.amdhsa_exception_int_div_zero 0
	.end_amdhsa_kernel
	.section	.text._ZN4vllm4gptq33gemm_half_q_half_gptq_3bit_kernelILb1ELi6EEEvPK6__halfPKjS6_S4_PS2_iiiibPKi,"axG",@progbits,_ZN4vllm4gptq33gemm_half_q_half_gptq_3bit_kernelILb1ELi6EEEvPK6__halfPKjS6_S4_PS2_iiiibPKi,comdat
.Lfunc_end36:
	.size	_ZN4vllm4gptq33gemm_half_q_half_gptq_3bit_kernelILb1ELi6EEEvPK6__halfPKjS6_S4_PS2_iiiibPKi, .Lfunc_end36-_ZN4vllm4gptq33gemm_half_q_half_gptq_3bit_kernelILb1ELi6EEEvPK6__halfPKjS6_S4_PS2_iiiibPKi
                                        ; -- End function
	.set _ZN4vllm4gptq33gemm_half_q_half_gptq_3bit_kernelILb1ELi6EEEvPK6__halfPKjS6_S4_PS2_iiiibPKi.num_vgpr, 121
	.set _ZN4vllm4gptq33gemm_half_q_half_gptq_3bit_kernelILb1ELi6EEEvPK6__halfPKjS6_S4_PS2_iiiibPKi.num_agpr, 0
	.set _ZN4vllm4gptq33gemm_half_q_half_gptq_3bit_kernelILb1ELi6EEEvPK6__halfPKjS6_S4_PS2_iiiibPKi.numbered_sgpr, 40
	.set _ZN4vllm4gptq33gemm_half_q_half_gptq_3bit_kernelILb1ELi6EEEvPK6__halfPKjS6_S4_PS2_iiiibPKi.num_named_barrier, 0
	.set _ZN4vllm4gptq33gemm_half_q_half_gptq_3bit_kernelILb1ELi6EEEvPK6__halfPKjS6_S4_PS2_iiiibPKi.private_seg_size, 0
	.set _ZN4vllm4gptq33gemm_half_q_half_gptq_3bit_kernelILb1ELi6EEEvPK6__halfPKjS6_S4_PS2_iiiibPKi.uses_vcc, 1
	.set _ZN4vllm4gptq33gemm_half_q_half_gptq_3bit_kernelILb1ELi6EEEvPK6__halfPKjS6_S4_PS2_iiiibPKi.uses_flat_scratch, 0
	.set _ZN4vllm4gptq33gemm_half_q_half_gptq_3bit_kernelILb1ELi6EEEvPK6__halfPKjS6_S4_PS2_iiiibPKi.has_dyn_sized_stack, 0
	.set _ZN4vllm4gptq33gemm_half_q_half_gptq_3bit_kernelILb1ELi6EEEvPK6__halfPKjS6_S4_PS2_iiiibPKi.has_recursion, 0
	.set _ZN4vllm4gptq33gemm_half_q_half_gptq_3bit_kernelILb1ELi6EEEvPK6__halfPKjS6_S4_PS2_iiiibPKi.has_indirect_call, 0
	.section	.AMDGPU.csdata,"",@progbits
; Kernel info:
; codeLenInByte = 9068
; TotalNumSgprs: 46
; NumVgprs: 121
; NumAgprs: 0
; TotalNumVgprs: 121
; ScratchSize: 0
; MemoryBound: 0
; FloatMode: 240
; IeeeMode: 1
; LDSByteSize: 1536 bytes/workgroup (compile time only)
; SGPRBlocks: 5
; VGPRBlocks: 15
; NumSGPRsForWavesPerEU: 46
; NumVGPRsForWavesPerEU: 121
; AccumOffset: 124
; Occupancy: 4
; WaveLimiterHint : 0
; COMPUTE_PGM_RSRC2:SCRATCH_EN: 0
; COMPUTE_PGM_RSRC2:USER_SGPR: 2
; COMPUTE_PGM_RSRC2:TRAP_HANDLER: 0
; COMPUTE_PGM_RSRC2:TGID_X_EN: 1
; COMPUTE_PGM_RSRC2:TGID_Y_EN: 1
; COMPUTE_PGM_RSRC2:TGID_Z_EN: 1
; COMPUTE_PGM_RSRC2:TIDIG_COMP_CNT: 0
; COMPUTE_PGM_RSRC3_GFX90A:ACCUM_OFFSET: 30
; COMPUTE_PGM_RSRC3_GFX90A:TG_SPLIT: 0
	.section	.text._ZN4vllm4gptq33gemm_half_q_half_gptq_4bit_kernelILb1ELi6EEEvPK6__halfPKjS6_S4_PS2_iiiibPKi,"axG",@progbits,_ZN4vllm4gptq33gemm_half_q_half_gptq_4bit_kernelILb1ELi6EEEvPK6__halfPKjS6_S4_PS2_iiiibPKi,comdat
	.protected	_ZN4vllm4gptq33gemm_half_q_half_gptq_4bit_kernelILb1ELi6EEEvPK6__halfPKjS6_S4_PS2_iiiibPKi ; -- Begin function _ZN4vllm4gptq33gemm_half_q_half_gptq_4bit_kernelILb1ELi6EEEvPK6__halfPKjS6_S4_PS2_iiiibPKi
	.globl	_ZN4vllm4gptq33gemm_half_q_half_gptq_4bit_kernelILb1ELi6EEEvPK6__halfPKjS6_S4_PS2_iiiibPKi
	.p2align	8
	.type	_ZN4vllm4gptq33gemm_half_q_half_gptq_4bit_kernelILb1ELi6EEEvPK6__halfPKjS6_S4_PS2_iiiibPKi,@function
_ZN4vllm4gptq33gemm_half_q_half_gptq_4bit_kernelILb1ELi6EEEvPK6__halfPKjS6_S4_PS2_iiiibPKi: ; @_ZN4vllm4gptq33gemm_half_q_half_gptq_4bit_kernelILb1ELi6EEEvPK6__halfPKjS6_S4_PS2_iiiibPKi
; %bb.0:
	s_load_dwordx8 s[8:15], s[0:1], 0x8
	s_load_dwordx4 s[16:19], s[0:1], 0x2c
	s_lshl_b32 s25, s4, 7
	s_mul_i32 s24, s3, 6
	s_add_i32 s3, s25, 0x80
	v_cvt_f64_u32_e32 v[2:3], s3
	s_waitcnt lgkmcnt(0)
	v_cvt_f64_i32_e32 v[4:5], s17
	v_min_f64 v[2:3], v[2:3], v[4:5]
	v_cvt_i32_f64_e32 v1, v[2:3]
	v_add_u32_e32 v2, s25, v0
	v_readfirstlane_b32 s26, v1
	v_cmp_lt_u32_e32 vcc, v2, v1
	s_and_saveexec_b64 s[4:5], vcc
	s_cbranch_execz .LBB37_14
; %bb.1:
	s_load_dwordx2 s[22:23], s[0:1], 0x40
	s_load_dwordx2 s[6:7], s[0:1], 0x0
	v_mov_b32_e32 v3, 0
	v_mov_b64_e32 v[6:7], v[2:3]
	s_waitcnt lgkmcnt(0)
	s_cmp_lg_u64 s[22:23], 0
	s_cselect_b64 s[20:21], -1, 0
	s_cmp_eq_u64 s[22:23], 0
	v_lshl_add_u64 v[4:5], v[2:3], 2, s[22:23]
	s_cbranch_scc1 .LBB37_3
; %bb.2:
	global_load_dword v6, v[4:5], off
	s_waitcnt vmcnt(0)
	v_ashrrev_i32_e32 v7, 31, v6
.LBB37_3:
	s_mul_i32 s22, s24, s17
	s_ashr_i32 s23, s22, 31
	s_lshl_b64 s[0:1], s[22:23], 1
	s_add_u32 s0, s6, s0
	s_addc_u32 s1, s7, s1
	v_lshl_add_u64 v[6:7], v[6:7], 1, s[0:1]
	global_load_ushort v6, v[6:7], off
	v_lshlrev_b32_e32 v1, 1, v0
	v_cndmask_b32_e64 v7, 0, 1, s[20:21]
	v_cmp_ne_u32_e64 s[0:1], 1, v7
	s_andn2_b64 vcc, exec, s[20:21]
	s_waitcnt vmcnt(0)
	ds_write_b16 v1, v6
	v_mov_b64_e32 v[6:7], v[2:3]
	s_cbranch_vccnz .LBB37_5
; %bb.4:
	global_load_dword v6, v[4:5], off
	s_waitcnt vmcnt(0)
	v_ashrrev_i32_e32 v7, 31, v6
.LBB37_5:
	s_add_i32 s20, s22, s17
	s_ashr_i32 s21, s20, 31
	s_lshl_b64 s[22:23], s[20:21], 1
	s_add_u32 s22, s6, s22
	s_addc_u32 s23, s7, s23
	v_lshl_add_u64 v[6:7], v[6:7], 1, s[22:23]
	global_load_ushort v6, v[6:7], off
	s_and_b64 vcc, exec, s[0:1]
	s_waitcnt vmcnt(0)
	ds_write_b16 v1, v6 offset:256
	v_mov_b64_e32 v[6:7], v[2:3]
	s_cbranch_vccnz .LBB37_7
; %bb.6:
	global_load_dword v6, v[4:5], off
	s_waitcnt vmcnt(0)
	v_ashrrev_i32_e32 v7, 31, v6
.LBB37_7:
	s_add_i32 s20, s20, s17
	s_ashr_i32 s21, s20, 31
	s_lshl_b64 s[22:23], s[20:21], 1
	s_add_u32 s22, s6, s22
	s_addc_u32 s23, s7, s23
	v_lshl_add_u64 v[6:7], v[6:7], 1, s[22:23]
	global_load_ushort v6, v[6:7], off
	s_and_b64 vcc, exec, s[0:1]
	s_waitcnt vmcnt(0)
	ds_write_b16 v1, v6 offset:512
	;; [unrolled: 17-line block ×4, first 2 shown]
	s_cbranch_vccnz .LBB37_13
; %bb.12:
	global_load_dword v2, v[4:5], off
	s_waitcnt vmcnt(0)
	v_ashrrev_i32_e32 v3, 31, v2
.LBB37_13:
	s_add_i32 s0, s20, s17
	s_ashr_i32 s1, s0, 31
	s_lshl_b64 s[0:1], s[0:1], 1
	s_add_u32 s0, s6, s0
	s_addc_u32 s1, s7, s1
	v_lshl_add_u64 v[2:3], v[2:3], 1, s[0:1]
	global_load_ushort v2, v[2:3], off
	s_waitcnt vmcnt(0)
	ds_write_b16 v1, v2 offset:1280
.LBB37_14:
	s_or_b64 exec, exec, s[4:5]
	v_lshlrev_b32_e32 v1, 2, v0
	v_lshl_add_u32 v6, s2, 9, v1
	v_cmp_gt_i32_e32 vcc, s16, v6
	s_and_saveexec_b64 s[0:1], vcc
	s_cbranch_execz .LBB37_44
; %bb.15:
	s_abs_i32 s0, s18
	v_cvt_f32_u32_e32 v1, s0
	v_mov_b32_e32 v5, 0
	s_cmp_ge_i32 s25, s26
	v_mov_b32_e32 v4, v5
	v_rcp_iflag_f32_e32 v1, v1
	v_mov_b32_e32 v34, v5
	v_mov_b32_e32 v15, v5
	;; [unrolled: 1-line block ×3, first 2 shown]
	v_mul_f32_e32 v1, 0x4f7ffffe, v1
	v_cvt_u32_f32_e32 v1, v1
	v_mov_b32_e32 v33, v5
	v_mov_b32_e32 v36, v5
	;; [unrolled: 1-line block ×3, first 2 shown]
	v_readfirstlane_b32 s1, v1
	v_mov_b32_e32 v38, v5
	v_mov_b32_e32 v37, v5
	;; [unrolled: 1-line block ×16, first 2 shown]
	s_waitcnt lgkmcnt(0)
	s_barrier
	s_cbranch_scc1 .LBB37_20
; %bb.16:
	s_sub_i32 s5, 0, s0
	s_mul_i32 s5, s5, s1
	s_mul_hi_u32 s5, s1, s5
	s_abs_i32 s4, s17
	s_add_i32 s1, s1, s5
	s_ashr_i32 s2, s17, 31
	s_ashr_i32 s3, s18, 31
	s_mul_hi_u32 s1, s4, s1
	s_xor_b32 s2, s2, s3
	s_mul_i32 s3, s1, s0
	s_sub_i32 s3, s4, s3
	s_add_i32 s4, s1, 1
	s_sub_i32 s5, s3, s0
	s_cmp_ge_u32 s3, s0
	s_cselect_b32 s1, s4, s1
	s_cselect_b32 s3, s5, s3
	s_add_i32 s4, s1, 1
	s_cmp_ge_u32 s3, s0
	s_cselect_b32 s0, s4, s1
	s_xor_b32 s0, s0, s2
	s_sub_i32 s4, s0, s2
	v_cvt_f32_u32_e32 v1, s4
	s_bitcmp1_b32 s19, 0
	s_cselect_b64 s[0:1], -1, 0
	s_sub_i32 s2, 0, s4
	v_rcp_iflag_f32_e32 v1, v1
	s_xor_b64 s[0:1], s[0:1], -1
	v_ashrrev_i32_e32 v7, 31, v6
	v_lshrrev_b32_e32 v2, 29, v7
	v_mul_f32_e32 v1, 0x4f7ffffe, v1
	v_cvt_u32_f32_e32 v1, v1
	v_add_u32_e32 v2, v6, v2
	v_ashrrev_i32_e32 v47, 3, v2
	v_cndmask_b32_e64 v56, 0, 1, s[0:1]
	v_readfirstlane_b32 s3, v1
	s_mul_i32 s2, s2, s3
	s_mul_hi_u32 s2, s3, s2
	s_add_i32 s3, s3, s2
	s_mul_hi_u32 s2, s25, s3
	s_mul_i32 s3, s2, s4
	s_sub_i32 s3, s25, s3
	s_add_i32 s5, s2, 1
	s_sub_i32 s6, s3, s4
	s_cmp_ge_u32 s3, s4
	s_cselect_b32 s2, s5, s2
	s_cselect_b32 s3, s6, s3
	s_add_i32 s5, s2, 1
	s_cmp_ge_u32 s3, s4
	s_cselect_b32 s5, s5, s2
	s_mul_i32 s2, s5, s16
	s_ashr_i32 s3, s2, 31
	s_lshr_b32 s3, s3, 29
	s_add_i32 s3, s2, s3
	s_ashr_i32 s3, s3, 3
	v_add_u32_e32 v4, s3, v47
	v_add_u32_e32 v2, s2, v6
	v_ashrrev_i32_e32 v5, 31, v4
	v_ashrrev_i32_e32 v3, 31, v2
	v_lshl_add_u64 v[4:5], v[4:5], 2, s[10:11]
	v_lshl_add_u64 v[2:3], v[2:3], 1, s[12:13]
	global_load_dword v1, v[4:5], off
	s_lshr_b32 s0, s25, 3
	global_load_dwordx2 v[2:3], v[2:3], off
	v_lshlrev_b32_e32 v0, 4, v0
	s_mul_i32 s0, s16, s0
	v_and_b32_e32 v55, 16, v0
	s_ashr_i32 s1, s0, 31
	s_lshl_b64 s[0:1], s[0:1], 2
	s_add_u32 s0, s8, s0
	s_mov_b32 s18, 0x10001
	v_mov_b32_e32 v54, 0xe400e400
	s_addc_u32 s1, s9, s1
	v_lshl_add_u64 v[8:9], v[6:7], 2, s[0:1]
	s_mov_b32 s7, 0xd400
	v_mov_b32_e32 v4, 0
	s_ashr_i32 s17, s16, 31
	s_mov_b32 s6, 0
	s_movk_i32 s19, 0x2c00
	v_mov_b32_e32 v5, v4
	v_mov_b32_e32 v52, v4
	;; [unrolled: 1-line block ×22, first 2 shown]
	s_add_i32 s8, s4, s25
	s_lshl_b64 s[0:1], s[16:17], 4
	s_lshl_b64 s[2:3], s[16:17], 2
	v_mov_b32_e32 v34, v4
	s_waitcnt vmcnt(1)
	v_lshrrev_b32_e32 v0, v0, v1
	v_lshrrev_b32_e32 v1, 12, v0
	s_waitcnt vmcnt(0)
	v_cvt_f32_f16_e32 v57, v2
	v_cvt_f32_f16_sdwa v58, v2 dst_sel:DWORD dst_unused:UNUSED_PAD src0_sel:WORD_1
	v_cvt_f32_f16_e32 v10, v3
	v_cvt_f32_f16_sdwa v11, v3 dst_sel:DWORD dst_unused:UNUSED_PAD src0_sel:WORD_1
	v_lshrrev_b32_e32 v2, 8, v0
	v_lshrrev_b32_e32 v3, 4, v0
	v_and_b32_e32 v0, 15, v0
	v_and_b32_e32 v1, 15, v1
	;; [unrolled: 1-line block ×4, first 2 shown]
	v_add_u32_e32 v0, v0, v56
	v_add_u32_e32 v2, v2, v56
	;; [unrolled: 1-line block ×4, first 2 shown]
	v_cvt_f32_ubyte0_e32 v7, v0
	v_mad_u32_u24 v59, v0, s18, v54
	v_cvt_f32_ubyte0_e32 v0, v1
	v_cvt_f32_ubyte0_e32 v12, v2
	v_mad_u32_u24 v62, v1, s18, v54
	v_cvt_f32_ubyte0_e32 v1, v3
	v_cvt_pk_f16_f32 v0, v12, v0
	v_cvt_pk_f16_f32 v1, v7, v1
	v_pk_add_f16 v0, v0, s7 op_sel_hi:[1,0] neg_lo:[1,0] neg_hi:[1,0]
	v_pk_add_f16 v1, v1, s7 op_sel_hi:[1,0] neg_lo:[1,0] neg_hi:[1,0]
	v_mad_u32_u24 v60, v2, s18, v54
	v_mad_u32_u24 v61, v3, s18, v54
	v_mul_u32_u24_sdwa v14, v0, s18 dst_sel:DWORD dst_unused:UNUSED_PAD src0_sel:WORD_0 src1_sel:DWORD
	v_mul_u32_u24_sdwa v13, v0, s18 dst_sel:DWORD dst_unused:UNUSED_PAD src0_sel:WORD_1 src1_sel:DWORD
	v_mul_u32_u24_sdwa v12, v1, s18 dst_sel:DWORD dst_unused:UNUSED_PAD src0_sel:WORD_0 src1_sel:DWORD
	v_mul_u32_u24_sdwa v7, v1, s18 dst_sel:DWORD dst_unused:UNUSED_PAD src0_sel:WORD_1 src1_sel:DWORD
	s_branch .LBB37_18
.LBB37_17:                              ;   in Loop: Header=BB37_18 Depth=1
	global_load_dwordx4 v[22:25], v[8:9], off
	s_add_i32 s9, s6, 0x400
	s_add_i32 s25, s25, 32
	s_waitcnt vmcnt(0)
	v_lshrrev_b32_e32 v2, 8, v22
	v_and_b32_e32 v0, 0xf000f, v22
	v_and_b32_e32 v1, 0xf000f0, v22
	;; [unrolled: 1-line block ×4, first 2 shown]
	v_lshrrev_b32_e32 v18, 8, v23
	v_or_b32_e32 v0, 0x64006400, v0
	v_or_b32_e32 v1, 0x64006400, v1
	;; [unrolled: 1-line block ×4, first 2 shown]
	v_and_b32_e32 v19, 0xf000f, v18
	v_and_b32_e32 v18, 0xf000f0, v18
	v_lshrrev_b32_e32 v22, 8, v24
	v_pk_add_f16 v3, v59, v0
	v_pk_fma_f16 v2, v1, s19, v12 op_sel_hi:[1,0,1]
	v_pk_add_f16 v0, v59, v16
	v_pk_fma_f16 v1, v17, s19, v12 op_sel_hi:[1,0,1]
	v_and_b32_e32 v16, 0xf000f, v23
	v_and_b32_e32 v17, 0xf000f0, v23
	v_or_b32_e32 v19, 0x64006400, v19
	v_or_b32_e32 v20, 0x64006400, v18
	v_and_b32_e32 v23, 0xf000f, v22
	v_and_b32_e32 v22, 0xf000f0, v22
	v_pk_add_f16 v18, v61, v19
	v_pk_fma_f16 v19, v20, s19, v7 op_sel_hi:[1,0,1]
	v_and_b32_e32 v20, 0xf000f, v24
	v_and_b32_e32 v21, 0xf000f0, v24
	v_or_b32_e32 v23, 0x64006400, v23
	v_or_b32_e32 v24, 0x64006400, v22
	v_pk_add_f16 v22, v60, v23
	v_pk_fma_f16 v23, v24, s19, v14 op_sel_hi:[1,0,1]
	v_and_b32_e32 v24, 0xf000f, v25
	v_and_b32_e32 v26, 0xf000f0, v25
	v_lshrrev_b32_e32 v25, 8, v25
	v_and_b32_e32 v27, 0xf000f, v25
	v_and_b32_e32 v25, 0xf000f0, v25
	v_or_b32_e32 v26, 0x64006400, v26
	v_or_b32_e32 v27, 0x64006400, v27
	;; [unrolled: 1-line block ×3, first 2 shown]
	v_pk_fma_f16 v25, v26, s19, v13 op_sel_hi:[1,0,1]
	v_pk_add_f16 v26, v62, v27
	v_pk_fma_f16 v27, v28, s19, v13 op_sel_hi:[1,0,1]
	v_mov_b32_e32 v28, s6
	ds_read2_b32 v[30:31], v28 offset1:1
	ds_read2_b32 v[64:65], v28 offset0:2 offset1:3
	v_or_b32_e32 v16, 0x64006400, v16
	v_or_b32_e32 v17, 0x64006400, v17
	v_pk_add_f16 v16, v61, v16
	s_waitcnt lgkmcnt(1)
	v_pk_fma_f16 v29, v3, v30, 0
	v_pk_fma_f16 v17, v17, s19, v7 op_sel_hi:[1,0,1]
	v_pk_fma_f16 v29, v2, v31, v29
	v_or_b32_e32 v20, 0x64006400, v20
	s_waitcnt lgkmcnt(0)
	v_pk_fma_f16 v29, v0, v64, v29
	v_or_b32_e32 v21, 0x64006400, v21
	v_pk_fma_f16 v29, v1, v65, v29
	v_pk_add_f16 v20, v60, v20
	v_cvt_f32_f16_e32 v63, v29
	v_cvt_f32_f16_sdwa v29, v29 dst_sel:DWORD dst_unused:UNUSED_PAD src0_sel:WORD_1
	v_pk_fma_f16 v21, v21, s19, v14 op_sel_hi:[1,0,1]
	v_or_b32_e32 v24, 0x64006400, v24
	v_pk_add_f16 v24, v62, v24
	v_add_f32_e32 v29, v29, v63
	v_fmac_f32_e32 v52, v29, v57
	v_pk_fma_f16 v29, v16, v30, 0
	s_nop 0
	v_pk_fma_f16 v29, v17, v31, v29
	s_nop 0
	v_pk_fma_f16 v29, v18, v64, v29
	s_nop 0
	v_pk_fma_f16 v29, v19, v65, v29
	s_nop 0
	v_cvt_f32_f16_e32 v63, v29
	v_cvt_f32_f16_sdwa v29, v29 dst_sel:DWORD dst_unused:UNUSED_PAD src0_sel:WORD_1
	v_add_f32_e32 v29, v29, v63
	v_fmac_f32_e32 v53, v29, v58
	v_pk_fma_f16 v29, v20, v30, 0
	s_nop 0
	v_pk_fma_f16 v29, v21, v31, v29
	s_nop 0
	v_pk_fma_f16 v29, v22, v64, v29
	s_nop 0
	v_pk_fma_f16 v29, v23, v65, v29
	s_nop 0
	v_cvt_f32_f16_e32 v63, v29
	v_cvt_f32_f16_sdwa v29, v29 dst_sel:DWORD dst_unused:UNUSED_PAD src0_sel:WORD_1
	v_add_f32_e32 v29, v29, v63
	v_fmac_f32_e32 v50, v29, v10
	v_pk_fma_f16 v29, v24, v30, 0
	s_nop 0
	v_pk_fma_f16 v29, v25, v31, v29
	s_nop 0
	v_pk_fma_f16 v29, v26, v64, v29
	s_nop 0
	v_pk_fma_f16 v29, v27, v65, v29
	ds_read2_b32 v[64:65], v28 offset0:66 offset1:67
	v_cvt_f32_f16_e32 v30, v29
	v_cvt_f32_f16_sdwa v29, v29 dst_sel:DWORD dst_unused:UNUSED_PAD src0_sel:WORD_1
	v_add_f32_e32 v29, v29, v30
	ds_read2_b32 v[30:31], v28 offset0:64 offset1:65
	v_fmac_f32_e32 v51, v29, v11
	s_waitcnt lgkmcnt(0)
	v_pk_fma_f16 v29, v3, v30, 0
	s_nop 0
	v_pk_fma_f16 v29, v2, v31, v29
	s_nop 0
	v_pk_fma_f16 v29, v0, v64, v29
	s_nop 0
	v_pk_fma_f16 v29, v1, v65, v29
	s_nop 0
	v_cvt_f32_f16_e32 v63, v29
	v_cvt_f32_f16_sdwa v29, v29 dst_sel:DWORD dst_unused:UNUSED_PAD src0_sel:WORD_1
	v_add_f32_e32 v29, v29, v63
	v_fmac_f32_e32 v48, v29, v57
	v_pk_fma_f16 v29, v16, v30, 0
	s_nop 0
	v_pk_fma_f16 v29, v17, v31, v29
	s_nop 0
	v_pk_fma_f16 v29, v18, v64, v29
	s_nop 0
	v_pk_fma_f16 v29, v19, v65, v29
	s_nop 0
	v_cvt_f32_f16_e32 v63, v29
	v_cvt_f32_f16_sdwa v29, v29 dst_sel:DWORD dst_unused:UNUSED_PAD src0_sel:WORD_1
	v_add_f32_e32 v29, v29, v63
	v_fmac_f32_e32 v49, v29, v58
	v_pk_fma_f16 v29, v20, v30, 0
	s_nop 0
	v_pk_fma_f16 v29, v21, v31, v29
	s_nop 0
	v_pk_fma_f16 v29, v22, v64, v29
	s_nop 0
	v_pk_fma_f16 v29, v23, v65, v29
	s_nop 0
	v_cvt_f32_f16_e32 v63, v29
	v_cvt_f32_f16_sdwa v29, v29 dst_sel:DWORD dst_unused:UNUSED_PAD src0_sel:WORD_1
	v_add_f32_e32 v29, v29, v63
	v_fmac_f32_e32 v45, v29, v10
	v_pk_fma_f16 v29, v24, v30, 0
	s_nop 0
	v_pk_fma_f16 v29, v25, v31, v29
	s_nop 0
	v_pk_fma_f16 v29, v26, v64, v29
	s_nop 0
	v_pk_fma_f16 v29, v27, v65, v29
	ds_read2_b32 v[64:65], v28 offset0:130 offset1:131
	v_cvt_f32_f16_e32 v30, v29
	v_cvt_f32_f16_sdwa v29, v29 dst_sel:DWORD dst_unused:UNUSED_PAD src0_sel:WORD_1
	v_add_f32_e32 v29, v29, v30
	ds_read2_b32 v[30:31], v28 offset0:128 offset1:129
	v_fmac_f32_e32 v46, v29, v11
	s_waitcnt lgkmcnt(0)
	v_pk_fma_f16 v29, v3, v30, 0
	s_nop 0
	v_pk_fma_f16 v29, v2, v31, v29
	s_nop 0
	v_pk_fma_f16 v29, v0, v64, v29
	s_nop 0
	v_pk_fma_f16 v29, v1, v65, v29
	s_nop 0
	v_cvt_f32_f16_e32 v63, v29
	v_cvt_f32_f16_sdwa v29, v29 dst_sel:DWORD dst_unused:UNUSED_PAD src0_sel:WORD_1
	;; [unrolled: 50-line block ×3, first 2 shown]
	v_add_f32_e32 v29, v29, v63
	v_fmac_f32_e32 v39, v29, v57
	v_pk_fma_f16 v29, v16, v30, 0
	s_nop 0
	v_pk_fma_f16 v29, v17, v31, v29
	s_nop 0
	v_pk_fma_f16 v29, v18, v64, v29
	s_nop 0
	v_pk_fma_f16 v29, v19, v65, v29
	s_nop 0
	v_cvt_f32_f16_e32 v63, v29
	v_cvt_f32_f16_sdwa v29, v29 dst_sel:DWORD dst_unused:UNUSED_PAD src0_sel:WORD_1
	v_add_f32_e32 v29, v29, v63
	v_fmac_f32_e32 v40, v29, v58
	v_pk_fma_f16 v29, v20, v30, 0
	s_nop 0
	v_pk_fma_f16 v29, v21, v31, v29
	s_nop 0
	v_pk_fma_f16 v29, v22, v64, v29
	s_nop 0
	v_pk_fma_f16 v29, v23, v65, v29
	s_nop 0
	v_cvt_f32_f16_e32 v63, v29
	v_cvt_f32_f16_sdwa v29, v29 dst_sel:DWORD dst_unused:UNUSED_PAD src0_sel:WORD_1
	v_add_f32_e32 v29, v29, v63
	v_fmac_f32_e32 v37, v29, v10
	v_pk_fma_f16 v29, v24, v30, 0
	s_nop 0
	v_pk_fma_f16 v29, v25, v31, v29
	s_nop 0
	v_pk_fma_f16 v29, v26, v64, v29
	s_nop 0
	v_pk_fma_f16 v29, v27, v65, v29
	s_nop 0
	v_cvt_f32_f16_e32 v30, v29
	v_cvt_f32_f16_sdwa v29, v29 dst_sel:DWORD dst_unused:UNUSED_PAD src0_sel:WORD_1
	v_add_f32_e32 v29, v29, v30
	v_fmac_f32_e32 v38, v29, v11
	v_mov_b32_e32 v29, s9
	ds_read2_b32 v[30:31], v29 offset1:1
	s_add_i32 s9, s6, 0x408
	v_mov_b32_e32 v63, s9
	ds_read2_b32 v[64:65], v63 offset1:1
	s_add_i32 s9, s6, 0x500
	s_waitcnt lgkmcnt(1)
	v_pk_fma_f16 v29, v3, v30, 0
	s_nop 0
	v_pk_fma_f16 v29, v2, v31, v29
	s_waitcnt lgkmcnt(0)
	v_pk_fma_f16 v29, v0, v64, v29
	s_nop 0
	v_pk_fma_f16 v29, v1, v65, v29
	s_nop 0
	v_cvt_f32_f16_e32 v63, v29
	v_cvt_f32_f16_sdwa v29, v29 dst_sel:DWORD dst_unused:UNUSED_PAD src0_sel:WORD_1
	v_add_f32_e32 v29, v29, v63
	v_fmac_f32_e32 v35, v29, v57
	v_pk_fma_f16 v29, v16, v30, 0
	s_nop 0
	v_pk_fma_f16 v29, v17, v31, v29
	s_nop 0
	v_pk_fma_f16 v29, v18, v64, v29
	s_nop 0
	v_pk_fma_f16 v29, v19, v65, v29
	s_nop 0
	v_cvt_f32_f16_e32 v63, v29
	v_cvt_f32_f16_sdwa v29, v29 dst_sel:DWORD dst_unused:UNUSED_PAD src0_sel:WORD_1
	v_add_f32_e32 v29, v29, v63
	v_fmac_f32_e32 v36, v29, v58
	v_pk_fma_f16 v29, v20, v30, 0
	s_nop 0
	v_pk_fma_f16 v29, v21, v31, v29
	s_nop 0
	;; [unrolled: 12-line block ×3, first 2 shown]
	v_pk_fma_f16 v29, v26, v64, v29
	s_nop 0
	v_pk_fma_f16 v29, v27, v65, v29
	s_nop 0
	v_cvt_f32_f16_e32 v30, v29
	v_cvt_f32_f16_sdwa v29, v29 dst_sel:DWORD dst_unused:UNUSED_PAD src0_sel:WORD_1
	v_add_f32_e32 v29, v29, v30
	v_fmac_f32_e32 v32, v29, v11
	v_mov_b32_e32 v29, s9
	ds_read2_b32 v[30:31], v29 offset1:1
	s_add_i32 s9, s6, 0x508
	s_waitcnt lgkmcnt(0)
	v_pk_fma_f16 v3, v3, v30, 0
	s_nop 0
	v_pk_fma_f16 v29, v2, v31, v3
	v_mov_b32_e32 v2, s9
	ds_read2_b32 v[2:3], v2 offset1:1
	s_add_i32 s9, s6, 0x410
	s_waitcnt lgkmcnt(0)
	v_pk_fma_f16 v0, v0, v2, v29
	s_nop 0
	v_pk_fma_f16 v0, v1, v3, v0
	s_nop 0
	v_cvt_f32_f16_e32 v1, v0
	v_cvt_f32_f16_sdwa v0, v0 dst_sel:DWORD dst_unused:UNUSED_PAD src0_sel:WORD_1
	v_add_f32_e32 v0, v0, v1
	v_fmac_f32_e32 v15, v0, v57
	v_pk_fma_f16 v0, v16, v30, 0
	s_nop 0
	v_pk_fma_f16 v0, v17, v31, v0
	s_nop 0
	;; [unrolled: 2-line block ×4, first 2 shown]
	v_cvt_f32_f16_e32 v1, v0
	v_cvt_f32_f16_sdwa v0, v0 dst_sel:DWORD dst_unused:UNUSED_PAD src0_sel:WORD_1
	v_add_f32_e32 v0, v0, v1
	v_fmac_f32_e32 v34, v0, v58
	v_pk_fma_f16 v0, v20, v30, 0
	s_nop 0
	v_pk_fma_f16 v0, v21, v31, v0
	s_nop 0
	;; [unrolled: 2-line block ×4, first 2 shown]
	v_cvt_f32_f16_e32 v16, v0
	v_cvt_f32_f16_sdwa v18, v0 dst_sel:DWORD dst_unused:UNUSED_PAD src0_sel:WORD_1
	v_pk_fma_f16 v0, v24, v30, 0
	s_nop 0
	v_pk_fma_f16 v0, v25, v31, v0
	s_nop 0
	;; [unrolled: 2-line block ×4, first 2 shown]
	v_cvt_f32_f16_sdwa v19, v0 dst_sel:DWORD dst_unused:UNUSED_PAD src0_sel:WORD_1
	v_cvt_f32_f16_e32 v17, v0
	v_lshl_add_u64 v[0:1], v[8:9], 0, s[2:3]
	global_load_dwordx4 v[20:23], v[0:1], off
	v_lshl_add_u64 v[8:9], v[8:9], 0, s[0:1]
	v_pk_add_f32 v[16:17], v[16:17], v[18:19]
	s_waitcnt vmcnt(0)
	v_and_b32_e32 v2, 0xf000f, v20
	v_and_b32_e32 v3, 0xf000f0, v20
	v_lshrrev_b32_e32 v20, 8, v20
	v_or_b32_e32 v2, 0x64006400, v2
	v_or_b32_e32 v3, 0x64006400, v3
	v_and_b32_e32 v24, 0xf000f, v20
	v_and_b32_e32 v20, 0xf000f0, v20
	v_or_b32_e32 v20, 0x64006400, v20
	v_pk_add_f16 v69, v59, v2
	v_pk_fma_f16 v68, v3, s19, v12 op_sel_hi:[1,0,1]
	v_and_b32_e32 v2, 0xf000f, v21
	v_and_b32_e32 v3, 0xf000f0, v21
	v_pk_fma_f16 v67, v20, s19, v12 op_sel_hi:[1,0,1]
	v_or_b32_e32 v2, 0x64006400, v2
	v_or_b32_e32 v3, 0x64006400, v3
	v_lshrrev_b32_e32 v20, 8, v21
	v_and_b32_e32 v21, 0xf000f, v20
	v_and_b32_e32 v20, 0xf000f0, v20
	v_pk_add_f16 v31, v61, v2
	v_pk_fma_f16 v63, v3, s19, v7 op_sel_hi:[1,0,1]
	v_and_b32_e32 v2, 0xf000f, v22
	v_and_b32_e32 v3, 0xf000f0, v22
	v_or_b32_e32 v20, 0x64006400, v20
	v_or_b32_e32 v2, 0x64006400, v2
	v_or_b32_e32 v3, 0x64006400, v3
	v_pk_fma_f16 v65, v20, s19, v7 op_sel_hi:[1,0,1]
	v_lshrrev_b32_e32 v20, 8, v22
	v_pk_add_f16 v22, v60, v2
	v_pk_fma_f16 v27, v3, s19, v14 op_sel_hi:[1,0,1]
	v_and_b32_e32 v2, 0xf000f, v23
	v_and_b32_e32 v3, 0xf000f0, v23
	v_or_b32_e32 v21, 0x64006400, v21
	v_or_b32_e32 v2, 0x64006400, v2
	;; [unrolled: 1-line block ×3, first 2 shown]
	v_pk_add_f16 v64, v61, v21
	v_and_b32_e32 v21, 0xf000f, v20
	v_and_b32_e32 v20, 0xf000f0, v20
	v_pk_add_f16 v25, v62, v2
	v_pk_fma_f16 v26, v3, s19, v13 op_sel_hi:[1,0,1]
	ds_read2_b32 v[2:3], v28 offset0:4 offset1:5
	v_or_b32_e32 v20, 0x64006400, v20
	v_or_b32_e32 v21, 0x64006400, v21
	v_pk_fma_f16 v30, v20, s19, v14 op_sel_hi:[1,0,1]
	v_lshrrev_b32_e32 v20, 8, v23
	v_pk_add_f16 v29, v60, v21
	v_and_b32_e32 v21, 0xf000f, v20
	v_and_b32_e32 v20, 0xf000f0, v20
	v_or_b32_e32 v24, 0x64006400, v24
	v_or_b32_e32 v20, 0x64006400, v20
	v_pk_add_f16 v66, v59, v24
	v_or_b32_e32 v21, 0x64006400, v21
	v_pk_fma_f16 v24, v20, s19, v13 op_sel_hi:[1,0,1]
	s_waitcnt lgkmcnt(0)
	v_pk_fma_f16 v20, v69, v2, 0
	v_pk_add_f16 v23, v62, v21
	v_pk_fma_f16 v70, v68, v3, v20
	ds_read2_b32 v[20:21], v28 offset0:6 offset1:7
	v_pk_fma_f32 v[4:5], v[16:17], v[10:11], v[4:5]
	s_waitcnt lgkmcnt(0)
	v_pk_fma_f16 v70, v66, v20, v70
	s_nop 0
	v_pk_fma_f16 v70, v67, v21, v70
	s_nop 0
	v_cvt_f32_f16_e32 v71, v70
	v_cvt_f32_f16_sdwa v70, v70 dst_sel:DWORD dst_unused:UNUSED_PAD src0_sel:WORD_1
	v_add_f32_e32 v70, v70, v71
	v_fmac_f32_e32 v52, v70, v57
	v_pk_fma_f16 v70, v31, v2, 0
	s_nop 0
	v_pk_fma_f16 v70, v63, v3, v70
	s_nop 0
	v_pk_fma_f16 v70, v64, v20, v70
	s_nop 0
	v_pk_fma_f16 v70, v65, v21, v70
	s_nop 0
	v_cvt_f32_f16_e32 v71, v70
	v_cvt_f32_f16_sdwa v70, v70 dst_sel:DWORD dst_unused:UNUSED_PAD src0_sel:WORD_1
	v_add_f32_e32 v70, v70, v71
	v_fmac_f32_e32 v53, v70, v58
	v_pk_fma_f16 v70, v22, v2, 0
	v_pk_fma_f16 v2, v25, v2, 0
	v_pk_fma_f16 v70, v27, v3, v70
	v_pk_fma_f16 v2, v26, v3, v2
	v_pk_fma_f16 v70, v29, v20, v70
	v_pk_fma_f16 v2, v23, v20, v2
	v_pk_fma_f16 v70, v30, v21, v70
	v_pk_fma_f16 v2, v24, v21, v2
	v_cvt_f32_f16_e32 v71, v70
	v_cvt_f32_f16_e32 v3, v2
	v_cvt_f32_f16_sdwa v2, v2 dst_sel:DWORD dst_unused:UNUSED_PAD src0_sel:WORD_1
	v_cvt_f32_f16_sdwa v70, v70 dst_sel:DWORD dst_unused:UNUSED_PAD src0_sel:WORD_1
	v_add_f32_e32 v2, v2, v3
	v_fmac_f32_e32 v51, v2, v11
	ds_read2_b32 v[2:3], v28 offset0:68 offset1:69
	v_add_f32_e32 v70, v70, v71
	v_fmac_f32_e32 v50, v70, v10
	s_waitcnt lgkmcnt(0)
	v_pk_fma_f16 v20, v69, v2, 0
	s_nop 0
	v_pk_fma_f16 v70, v68, v3, v20
	ds_read2_b32 v[20:21], v28 offset0:70 offset1:71
	s_waitcnt lgkmcnt(0)
	v_pk_fma_f16 v70, v66, v20, v70
	s_nop 0
	v_pk_fma_f16 v70, v67, v21, v70
	s_nop 0
	v_cvt_f32_f16_e32 v71, v70
	v_cvt_f32_f16_sdwa v70, v70 dst_sel:DWORD dst_unused:UNUSED_PAD src0_sel:WORD_1
	v_add_f32_e32 v70, v70, v71
	v_fmac_f32_e32 v48, v70, v57
	v_pk_fma_f16 v70, v31, v2, 0
	s_nop 0
	v_pk_fma_f16 v70, v63, v3, v70
	s_nop 0
	v_pk_fma_f16 v70, v64, v20, v70
	s_nop 0
	v_pk_fma_f16 v70, v65, v21, v70
	s_nop 0
	v_cvt_f32_f16_e32 v71, v70
	v_cvt_f32_f16_sdwa v70, v70 dst_sel:DWORD dst_unused:UNUSED_PAD src0_sel:WORD_1
	v_add_f32_e32 v70, v70, v71
	v_fmac_f32_e32 v49, v70, v58
	v_pk_fma_f16 v70, v22, v2, 0
	v_pk_fma_f16 v2, v25, v2, 0
	v_pk_fma_f16 v70, v27, v3, v70
	v_pk_fma_f16 v2, v26, v3, v2
	v_pk_fma_f16 v70, v29, v20, v70
	v_pk_fma_f16 v2, v23, v20, v2
	v_pk_fma_f16 v70, v30, v21, v70
	v_pk_fma_f16 v2, v24, v21, v2
	v_cvt_f32_f16_e32 v71, v70
	v_cvt_f32_f16_e32 v3, v2
	v_cvt_f32_f16_sdwa v2, v2 dst_sel:DWORD dst_unused:UNUSED_PAD src0_sel:WORD_1
	v_cvt_f32_f16_sdwa v70, v70 dst_sel:DWORD dst_unused:UNUSED_PAD src0_sel:WORD_1
	v_add_f32_e32 v2, v2, v3
	v_fmac_f32_e32 v46, v2, v11
	ds_read2_b32 v[2:3], v28 offset0:132 offset1:133
	v_add_f32_e32 v70, v70, v71
	v_fmac_f32_e32 v45, v70, v10
	s_waitcnt lgkmcnt(0)
	v_pk_fma_f16 v20, v69, v2, 0
	s_nop 0
	v_pk_fma_f16 v70, v68, v3, v20
	ds_read2_b32 v[20:21], v28 offset0:134 offset1:135
	;; [unrolled: 43-line block ×3, first 2 shown]
	s_waitcnt lgkmcnt(0)
	v_pk_fma_f16 v70, v66, v20, v70
	s_nop 0
	v_pk_fma_f16 v70, v67, v21, v70
	s_nop 0
	v_cvt_f32_f16_e32 v71, v70
	v_cvt_f32_f16_sdwa v70, v70 dst_sel:DWORD dst_unused:UNUSED_PAD src0_sel:WORD_1
	v_add_f32_e32 v70, v70, v71
	v_fmac_f32_e32 v39, v70, v57
	v_pk_fma_f16 v70, v31, v2, 0
	s_nop 0
	v_pk_fma_f16 v70, v63, v3, v70
	s_nop 0
	;; [unrolled: 2-line block ×4, first 2 shown]
	v_cvt_f32_f16_e32 v71, v70
	v_cvt_f32_f16_sdwa v70, v70 dst_sel:DWORD dst_unused:UNUSED_PAD src0_sel:WORD_1
	v_add_f32_e32 v70, v70, v71
	v_fmac_f32_e32 v40, v70, v58
	v_pk_fma_f16 v70, v22, v2, 0
	v_pk_fma_f16 v2, v25, v2, 0
	v_pk_fma_f16 v70, v27, v3, v70
	v_pk_fma_f16 v2, v26, v3, v2
	v_pk_fma_f16 v70, v29, v20, v70
	v_pk_fma_f16 v2, v23, v20, v2
	v_pk_fma_f16 v70, v30, v21, v70
	v_pk_fma_f16 v2, v24, v21, v2
	v_cvt_f32_f16_e32 v71, v70
	v_cvt_f32_f16_e32 v3, v2
	v_cvt_f32_f16_sdwa v2, v2 dst_sel:DWORD dst_unused:UNUSED_PAD src0_sel:WORD_1
	v_cvt_f32_f16_sdwa v70, v70 dst_sel:DWORD dst_unused:UNUSED_PAD src0_sel:WORD_1
	v_add_f32_e32 v2, v2, v3
	v_fmac_f32_e32 v38, v2, v11
	v_mov_b32_e32 v2, s9
	ds_read2_b32 v[2:3], v2 offset1:1
	v_add_f32_e32 v70, v70, v71
	s_add_i32 s9, s6, 0x418
	v_fmac_f32_e32 v37, v70, v10
	s_waitcnt lgkmcnt(0)
	v_pk_fma_f16 v20, v69, v2, 0
	s_nop 0
	v_pk_fma_f16 v70, v68, v3, v20
	v_mov_b32_e32 v20, s9
	ds_read2_b32 v[20:21], v20 offset1:1
	s_add_i32 s9, s6, 0x510
	s_waitcnt lgkmcnt(0)
	v_pk_fma_f16 v70, v66, v20, v70
	s_nop 0
	v_pk_fma_f16 v70, v67, v21, v70
	s_nop 0
	v_cvt_f32_f16_e32 v71, v70
	v_cvt_f32_f16_sdwa v70, v70 dst_sel:DWORD dst_unused:UNUSED_PAD src0_sel:WORD_1
	v_add_f32_e32 v70, v70, v71
	v_fmac_f32_e32 v35, v70, v57
	v_pk_fma_f16 v70, v31, v2, 0
	s_nop 0
	v_pk_fma_f16 v70, v63, v3, v70
	s_nop 0
	;; [unrolled: 2-line block ×4, first 2 shown]
	v_cvt_f32_f16_e32 v71, v70
	v_cvt_f32_f16_sdwa v70, v70 dst_sel:DWORD dst_unused:UNUSED_PAD src0_sel:WORD_1
	v_add_f32_e32 v70, v70, v71
	v_fmac_f32_e32 v36, v70, v58
	v_pk_fma_f16 v70, v22, v2, 0
	v_pk_fma_f16 v2, v25, v2, 0
	;; [unrolled: 1-line block ×8, first 2 shown]
	v_cvt_f32_f16_e32 v71, v70
	v_cvt_f32_f16_e32 v3, v2
	v_cvt_f32_f16_sdwa v2, v2 dst_sel:DWORD dst_unused:UNUSED_PAD src0_sel:WORD_1
	v_cvt_f32_f16_sdwa v70, v70 dst_sel:DWORD dst_unused:UNUSED_PAD src0_sel:WORD_1
	v_add_f32_e32 v2, v2, v3
	v_add_f32_e32 v70, v70, v71
	v_fmac_f32_e32 v32, v2, v11
	v_mov_b32_e32 v2, s9
	v_fmac_f32_e32 v33, v70, v10
	ds_read2_b32 v[70:71], v2 offset1:1
	s_add_i32 s9, s6, 0x518
	s_waitcnt lgkmcnt(0)
	v_pk_fma_f16 v2, v69, v70, 0
	s_nop 0
	v_pk_fma_f16 v20, v68, v71, v2
	v_mov_b32_e32 v2, s9
	ds_read2_b32 v[2:3], v2 offset1:1
	s_add_i32 s9, s6, 0x420
	s_waitcnt lgkmcnt(0)
	v_pk_fma_f16 v20, v66, v2, v20
	s_nop 0
	v_pk_fma_f16 v20, v67, v3, v20
	s_nop 0
	v_cvt_f32_f16_e32 v21, v20
	v_cvt_f32_f16_sdwa v20, v20 dst_sel:DWORD dst_unused:UNUSED_PAD src0_sel:WORD_1
	v_add_f32_e32 v20, v20, v21
	v_fmac_f32_e32 v15, v20, v57
	v_pk_fma_f16 v20, v31, v70, 0
	s_nop 0
	v_pk_fma_f16 v20, v63, v71, v20
	s_nop 0
	;; [unrolled: 2-line block ×4, first 2 shown]
	v_cvt_f32_f16_e32 v21, v20
	v_cvt_f32_f16_sdwa v20, v20 dst_sel:DWORD dst_unused:UNUSED_PAD src0_sel:WORD_1
	v_add_f32_e32 v20, v20, v21
	v_fmac_f32_e32 v34, v20, v58
	v_pk_fma_f16 v20, v22, v70, 0
	s_nop 0
	v_pk_fma_f16 v20, v27, v71, v20
	s_nop 0
	;; [unrolled: 2-line block ×4, first 2 shown]
	v_cvt_f32_f16_e32 v20, v21
	v_cvt_f32_f16_sdwa v22, v21 dst_sel:DWORD dst_unused:UNUSED_PAD src0_sel:WORD_1
	v_pk_fma_f16 v21, v25, v70, 0
	s_nop 0
	v_pk_fma_f16 v21, v26, v71, v21
	s_nop 0
	;; [unrolled: 2-line block ×3, first 2 shown]
	v_pk_fma_f16 v2, v24, v3, v2
	v_lshl_add_u64 v[24:25], v[0:1], 0, s[2:3]
	v_cvt_f32_f16_sdwa v23, v2 dst_sel:DWORD dst_unused:UNUSED_PAD src0_sel:WORD_1
	v_cvt_f32_f16_e32 v21, v2
	global_load_dwordx4 v[0:3], v[24:25], off
	v_lshl_add_u64 v[24:25], v[24:25], 0, s[2:3]
	v_pk_add_f32 v[16:17], v[20:21], v[22:23]
	s_nop 0
	v_pk_fma_f32 v[4:5], v[16:17], v[10:11], v[4:5]
	s_waitcnt vmcnt(0)
	v_and_b32_e32 v26, 0xf000f, v0
	v_and_b32_e32 v27, 0xf000f0, v0
	v_lshrrev_b32_e32 v0, 8, v0
	v_and_b32_e32 v29, 0xf000f, v0
	v_and_b32_e32 v0, 0xf000f0, v0
	v_or_b32_e32 v26, 0x64006400, v26
	v_or_b32_e32 v30, 0x64006400, v29
	;; [unrolled: 1-line block ×3, first 2 shown]
	v_pk_add_f16 v29, v59, v26
	v_pk_add_f16 v0, v59, v30
	v_pk_fma_f16 v26, v31, s19, v12 op_sel_hi:[1,0,1]
	v_and_b32_e32 v30, 0xf000f, v1
	v_and_b32_e32 v31, 0xf000f0, v1
	v_lshrrev_b32_e32 v1, 8, v1
	v_and_b32_e32 v63, 0xf000f, v1
	v_and_b32_e32 v1, 0xf000f0, v1
	v_or_b32_e32 v30, 0x64006400, v30
	v_or_b32_e32 v31, 0x64006400, v31
	;; [unrolled: 1-line block ×4, first 2 shown]
	v_pk_add_f16 v1, v61, v30
	v_pk_fma_f16 v30, v31, s19, v7 op_sel_hi:[1,0,1]
	v_pk_add_f16 v31, v61, v63
	v_pk_fma_f16 v63, v64, s19, v7 op_sel_hi:[1,0,1]
	v_and_b32_e32 v64, 0xf000f, v2
	v_and_b32_e32 v65, 0xf000f0, v2
	v_lshrrev_b32_e32 v2, 8, v2
	v_and_b32_e32 v66, 0xf000f, v2
	v_and_b32_e32 v2, 0xf000f0, v2
	v_or_b32_e32 v64, 0x64006400, v64
	v_or_b32_e32 v65, 0x64006400, v65
	;; [unrolled: 1-line block ×4, first 2 shown]
	v_pk_add_f16 v2, v60, v64
	v_pk_fma_f16 v64, v65, s19, v14 op_sel_hi:[1,0,1]
	v_pk_add_f16 v65, v60, v66
	v_pk_fma_f16 v66, v67, s19, v14 op_sel_hi:[1,0,1]
	v_and_b32_e32 v67, 0xf000f, v3
	v_and_b32_e32 v68, 0xf000f0, v3
	v_lshrrev_b32_e32 v3, 8, v3
	v_and_b32_e32 v69, 0xf000f, v3
	v_or_b32_e32 v68, 0x64006400, v68
	v_or_b32_e32 v69, 0x64006400, v69
	v_pk_fma_f16 v72, v68, s19, v13 op_sel_hi:[1,0,1]
	v_pk_add_f16 v73, v62, v69
	ds_read2_b32 v[68:69], v28 offset0:8 offset1:9
	v_or_b32_e32 v27, 0x64006400, v27
	v_pk_fma_f16 v27, v27, s19, v12 op_sel_hi:[1,0,1]
	v_or_b32_e32 v67, 0x64006400, v67
	v_pk_add_f16 v67, v62, v67
	s_waitcnt lgkmcnt(0)
	v_pk_fma_f16 v70, v29, v68, 0
	v_and_b32_e32 v3, 0xf000f0, v3
	v_pk_fma_f16 v74, v27, v69, v70
	ds_read2_b32 v[70:71], v28 offset0:10 offset1:11
	v_or_b32_e32 v3, 0x64006400, v3
	v_pk_fma_f16 v3, v3, s19, v13 op_sel_hi:[1,0,1]
	s_waitcnt lgkmcnt(0)
	v_pk_fma_f16 v74, v0, v70, v74
	s_nop 0
	v_pk_fma_f16 v74, v26, v71, v74
	s_nop 0
	v_cvt_f32_f16_e32 v75, v74
	v_cvt_f32_f16_sdwa v74, v74 dst_sel:DWORD dst_unused:UNUSED_PAD src0_sel:WORD_1
	v_add_f32_e32 v74, v74, v75
	v_fmac_f32_e32 v52, v74, v57
	v_pk_fma_f16 v74, v1, v68, 0
	s_nop 0
	v_pk_fma_f16 v74, v30, v69, v74
	s_nop 0
	v_pk_fma_f16 v74, v31, v70, v74
	s_nop 0
	v_pk_fma_f16 v74, v63, v71, v74
	s_nop 0
	v_cvt_f32_f16_e32 v75, v74
	v_cvt_f32_f16_sdwa v74, v74 dst_sel:DWORD dst_unused:UNUSED_PAD src0_sel:WORD_1
	v_add_f32_e32 v74, v74, v75
	v_fmac_f32_e32 v53, v74, v58
	v_pk_fma_f16 v74, v2, v68, 0
	v_pk_fma_f16 v68, v67, v68, 0
	v_pk_fma_f16 v74, v64, v69, v74
	v_pk_fma_f16 v68, v72, v69, v68
	v_pk_fma_f16 v74, v65, v70, v74
	v_pk_fma_f16 v68, v73, v70, v68
	v_pk_fma_f16 v74, v66, v71, v74
	v_pk_fma_f16 v68, v3, v71, v68
	v_cvt_f32_f16_e32 v75, v74
	v_cvt_f32_f16_e32 v69, v68
	v_cvt_f32_f16_sdwa v68, v68 dst_sel:DWORD dst_unused:UNUSED_PAD src0_sel:WORD_1
	v_cvt_f32_f16_sdwa v74, v74 dst_sel:DWORD dst_unused:UNUSED_PAD src0_sel:WORD_1
	v_add_f32_e32 v68, v68, v69
	v_fmac_f32_e32 v51, v68, v11
	ds_read2_b32 v[68:69], v28 offset0:72 offset1:73
	v_add_f32_e32 v74, v74, v75
	v_fmac_f32_e32 v50, v74, v10
	s_waitcnt lgkmcnt(0)
	v_pk_fma_f16 v70, v29, v68, 0
	s_nop 0
	v_pk_fma_f16 v74, v27, v69, v70
	ds_read2_b32 v[70:71], v28 offset0:74 offset1:75
	s_waitcnt lgkmcnt(0)
	v_pk_fma_f16 v74, v0, v70, v74
	s_nop 0
	v_pk_fma_f16 v74, v26, v71, v74
	s_nop 0
	v_cvt_f32_f16_e32 v75, v74
	v_cvt_f32_f16_sdwa v74, v74 dst_sel:DWORD dst_unused:UNUSED_PAD src0_sel:WORD_1
	v_add_f32_e32 v74, v74, v75
	v_fmac_f32_e32 v48, v74, v57
	v_pk_fma_f16 v74, v1, v68, 0
	s_nop 0
	v_pk_fma_f16 v74, v30, v69, v74
	s_nop 0
	v_pk_fma_f16 v74, v31, v70, v74
	s_nop 0
	v_pk_fma_f16 v74, v63, v71, v74
	s_nop 0
	v_cvt_f32_f16_e32 v75, v74
	v_cvt_f32_f16_sdwa v74, v74 dst_sel:DWORD dst_unused:UNUSED_PAD src0_sel:WORD_1
	v_add_f32_e32 v74, v74, v75
	v_fmac_f32_e32 v49, v74, v58
	v_pk_fma_f16 v74, v2, v68, 0
	v_pk_fma_f16 v68, v67, v68, 0
	v_pk_fma_f16 v74, v64, v69, v74
	v_pk_fma_f16 v68, v72, v69, v68
	v_pk_fma_f16 v74, v65, v70, v74
	v_pk_fma_f16 v68, v73, v70, v68
	v_pk_fma_f16 v74, v66, v71, v74
	v_pk_fma_f16 v68, v3, v71, v68
	v_cvt_f32_f16_e32 v75, v74
	v_cvt_f32_f16_e32 v69, v68
	v_cvt_f32_f16_sdwa v68, v68 dst_sel:DWORD dst_unused:UNUSED_PAD src0_sel:WORD_1
	v_cvt_f32_f16_sdwa v74, v74 dst_sel:DWORD dst_unused:UNUSED_PAD src0_sel:WORD_1
	v_add_f32_e32 v68, v68, v69
	v_fmac_f32_e32 v46, v68, v11
	ds_read2_b32 v[68:69], v28 offset0:136 offset1:137
	v_add_f32_e32 v74, v74, v75
	v_fmac_f32_e32 v45, v74, v10
	s_waitcnt lgkmcnt(0)
	v_pk_fma_f16 v70, v29, v68, 0
	s_nop 0
	v_pk_fma_f16 v74, v27, v69, v70
	ds_read2_b32 v[70:71], v28 offset0:138 offset1:139
	s_waitcnt lgkmcnt(0)
	v_pk_fma_f16 v74, v0, v70, v74
	s_nop 0
	v_pk_fma_f16 v74, v26, v71, v74
	s_nop 0
	v_cvt_f32_f16_e32 v75, v74
	v_cvt_f32_f16_sdwa v74, v74 dst_sel:DWORD dst_unused:UNUSED_PAD src0_sel:WORD_1
	v_add_f32_e32 v74, v74, v75
	v_fmac_f32_e32 v43, v74, v57
	v_pk_fma_f16 v74, v1, v68, 0
	s_nop 0
	v_pk_fma_f16 v74, v30, v69, v74
	s_nop 0
	v_pk_fma_f16 v74, v31, v70, v74
	s_nop 0
	v_pk_fma_f16 v74, v63, v71, v74
	s_nop 0
	v_cvt_f32_f16_e32 v75, v74
	v_cvt_f32_f16_sdwa v74, v74 dst_sel:DWORD dst_unused:UNUSED_PAD src0_sel:WORD_1
	v_add_f32_e32 v74, v74, v75
	v_fmac_f32_e32 v44, v74, v58
	v_pk_fma_f16 v74, v2, v68, 0
	v_pk_fma_f16 v68, v67, v68, 0
	v_pk_fma_f16 v74, v64, v69, v74
	v_pk_fma_f16 v68, v72, v69, v68
	v_pk_fma_f16 v74, v65, v70, v74
	v_pk_fma_f16 v68, v73, v70, v68
	v_pk_fma_f16 v74, v66, v71, v74
	v_pk_fma_f16 v68, v3, v71, v68
	v_cvt_f32_f16_e32 v75, v74
	v_cvt_f32_f16_e32 v69, v68
	v_cvt_f32_f16_sdwa v68, v68 dst_sel:DWORD dst_unused:UNUSED_PAD src0_sel:WORD_1
	v_cvt_f32_f16_sdwa v74, v74 dst_sel:DWORD dst_unused:UNUSED_PAD src0_sel:WORD_1
	v_add_f32_e32 v68, v68, v69
	v_fmac_f32_e32 v42, v68, v11
	ds_read2_b32 v[68:69], v28 offset0:200 offset1:201
	v_add_f32_e32 v74, v74, v75
	v_fmac_f32_e32 v41, v74, v10
	s_waitcnt lgkmcnt(0)
	v_pk_fma_f16 v70, v29, v68, 0
	s_nop 0
	v_pk_fma_f16 v74, v27, v69, v70
	ds_read2_b32 v[70:71], v28 offset0:202 offset1:203
	s_waitcnt lgkmcnt(0)
	v_pk_fma_f16 v74, v0, v70, v74
	s_nop 0
	v_pk_fma_f16 v74, v26, v71, v74
	s_nop 0
	v_cvt_f32_f16_e32 v75, v74
	v_cvt_f32_f16_sdwa v74, v74 dst_sel:DWORD dst_unused:UNUSED_PAD src0_sel:WORD_1
	v_add_f32_e32 v74, v74, v75
	v_fmac_f32_e32 v39, v74, v57
	v_pk_fma_f16 v74, v1, v68, 0
	s_nop 0
	v_pk_fma_f16 v74, v30, v69, v74
	s_nop 0
	;; [unrolled: 2-line block ×4, first 2 shown]
	v_cvt_f32_f16_e32 v75, v74
	v_cvt_f32_f16_sdwa v74, v74 dst_sel:DWORD dst_unused:UNUSED_PAD src0_sel:WORD_1
	v_add_f32_e32 v74, v74, v75
	v_fmac_f32_e32 v40, v74, v58
	v_pk_fma_f16 v74, v2, v68, 0
	v_pk_fma_f16 v68, v67, v68, 0
	v_pk_fma_f16 v74, v64, v69, v74
	v_pk_fma_f16 v68, v72, v69, v68
	v_pk_fma_f16 v74, v65, v70, v74
	v_pk_fma_f16 v68, v73, v70, v68
	v_pk_fma_f16 v74, v66, v71, v74
	v_pk_fma_f16 v68, v3, v71, v68
	v_cvt_f32_f16_e32 v75, v74
	v_cvt_f32_f16_e32 v69, v68
	v_cvt_f32_f16_sdwa v68, v68 dst_sel:DWORD dst_unused:UNUSED_PAD src0_sel:WORD_1
	v_cvt_f32_f16_sdwa v74, v74 dst_sel:DWORD dst_unused:UNUSED_PAD src0_sel:WORD_1
	v_add_f32_e32 v68, v68, v69
	v_fmac_f32_e32 v38, v68, v11
	v_mov_b32_e32 v68, s9
	ds_read2_b32 v[68:69], v68 offset1:1
	v_add_f32_e32 v74, v74, v75
	s_add_i32 s9, s6, 0x428
	v_fmac_f32_e32 v37, v74, v10
	s_waitcnt lgkmcnt(0)
	v_pk_fma_f16 v70, v29, v68, 0
	s_nop 0
	v_pk_fma_f16 v74, v27, v69, v70
	v_mov_b32_e32 v70, s9
	ds_read2_b32 v[70:71], v70 offset1:1
	s_add_i32 s9, s6, 0x520
	s_waitcnt lgkmcnt(0)
	v_pk_fma_f16 v74, v0, v70, v74
	s_nop 0
	v_pk_fma_f16 v74, v26, v71, v74
	s_nop 0
	v_cvt_f32_f16_e32 v75, v74
	v_cvt_f32_f16_sdwa v74, v74 dst_sel:DWORD dst_unused:UNUSED_PAD src0_sel:WORD_1
	v_add_f32_e32 v74, v74, v75
	v_fmac_f32_e32 v35, v74, v57
	v_pk_fma_f16 v74, v1, v68, 0
	s_nop 0
	v_pk_fma_f16 v74, v30, v69, v74
	s_nop 0
	;; [unrolled: 2-line block ×4, first 2 shown]
	v_cvt_f32_f16_e32 v75, v74
	v_cvt_f32_f16_sdwa v74, v74 dst_sel:DWORD dst_unused:UNUSED_PAD src0_sel:WORD_1
	v_add_f32_e32 v74, v74, v75
	v_fmac_f32_e32 v36, v74, v58
	v_pk_fma_f16 v74, v2, v68, 0
	v_pk_fma_f16 v68, v67, v68, 0
	;; [unrolled: 1-line block ×8, first 2 shown]
	v_cvt_f32_f16_e32 v75, v74
	v_cvt_f32_f16_e32 v69, v68
	v_cvt_f32_f16_sdwa v68, v68 dst_sel:DWORD dst_unused:UNUSED_PAD src0_sel:WORD_1
	v_cvt_f32_f16_sdwa v74, v74 dst_sel:DWORD dst_unused:UNUSED_PAD src0_sel:WORD_1
	v_add_f32_e32 v68, v68, v69
	v_fmac_f32_e32 v32, v68, v11
	v_mov_b32_e32 v68, s9
	ds_read2_b32 v[68:69], v68 offset1:1
	s_add_i32 s9, s6, 0x528
	v_add_f32_e32 v74, v74, v75
	v_fmac_f32_e32 v33, v74, v10
	s_waitcnt lgkmcnt(0)
	v_pk_fma_f16 v29, v29, v68, 0
	s_nop 0
	v_pk_fma_f16 v27, v27, v69, v29
	v_mov_b32_e32 v29, s9
	ds_read2_b32 v[70:71], v29 offset1:1
	s_add_i32 s9, s6, 0x430
	s_waitcnt lgkmcnt(0)
	v_pk_fma_f16 v0, v0, v70, v27
	s_nop 0
	v_pk_fma_f16 v0, v26, v71, v0
	s_nop 0
	v_cvt_f32_f16_e32 v26, v0
	v_cvt_f32_f16_sdwa v0, v0 dst_sel:DWORD dst_unused:UNUSED_PAD src0_sel:WORD_1
	v_add_f32_e32 v0, v0, v26
	global_load_dwordx4 v[24:27], v[24:25], off
	v_fmac_f32_e32 v15, v0, v57
	v_pk_fma_f16 v0, v1, v68, 0
	s_waitcnt vmcnt(0)
	v_and_b32_e32 v29, 0xf000f, v24
	v_pk_fma_f16 v0, v30, v69, v0
	v_and_b32_e32 v30, 0xf000f0, v24
	v_pk_fma_f16 v0, v31, v70, v0
	v_lshrrev_b32_e32 v24, 8, v24
	v_pk_fma_f16 v0, v63, v71, v0
	v_and_b32_e32 v31, 0xf000f, v24
	v_cvt_f32_f16_e32 v1, v0
	v_cvt_f32_f16_sdwa v0, v0 dst_sel:DWORD dst_unused:UNUSED_PAD src0_sel:WORD_1
	v_and_b32_e32 v24, 0xf000f0, v24
	v_or_b32_e32 v29, 0x64006400, v29
	v_or_b32_e32 v24, 0x64006400, v24
	v_add_f32_e32 v0, v0, v1
	v_fmac_f32_e32 v34, v0, v58
	v_pk_fma_f16 v0, v2, v68, 0
	v_or_b32_e32 v30, 0x64006400, v30
	v_pk_fma_f16 v0, v64, v69, v0
	v_pk_add_f16 v77, v59, v29
	v_pk_fma_f16 v0, v65, v70, v0
	v_pk_fma_f16 v75, v24, s19, v12 op_sel_hi:[1,0,1]
	v_pk_fma_f16 v1, v66, v71, v0
	v_and_b32_e32 v24, 0xf000f, v25
	v_and_b32_e32 v29, 0xf000f0, v25
	v_lshrrev_b32_e32 v25, 8, v25
	v_cvt_f32_f16_e32 v0, v1
	v_cvt_f32_f16_sdwa v2, v1 dst_sel:DWORD dst_unused:UNUSED_PAD src0_sel:WORD_1
	v_pk_fma_f16 v1, v67, v68, 0
	v_pk_fma_f16 v76, v30, s19, v12 op_sel_hi:[1,0,1]
	v_and_b32_e32 v30, 0xf000f, v25
	v_and_b32_e32 v25, 0xf000f0, v25
	v_pk_fma_f16 v1, v72, v69, v1
	v_or_b32_e32 v24, 0x64006400, v24
	v_or_b32_e32 v25, 0x64006400, v25
	v_pk_fma_f16 v1, v73, v70, v1
	v_pk_add_f16 v70, v61, v24
	v_pk_fma_f16 v73, v25, s19, v7 op_sel_hi:[1,0,1]
	v_and_b32_e32 v24, 0xf000f, v26
	v_and_b32_e32 v25, 0xf000f0, v26
	v_or_b32_e32 v24, 0x64006400, v24
	v_or_b32_e32 v25, 0x64006400, v25
	v_pk_add_f16 v66, v60, v24
	v_pk_fma_f16 v67, v25, s19, v14 op_sel_hi:[1,0,1]
	v_and_b32_e32 v24, 0xf000f, v27
	v_and_b32_e32 v25, 0xf000f0, v27
	v_or_b32_e32 v29, 0x64006400, v29
	v_lshrrev_b32_e32 v26, 8, v26
	v_or_b32_e32 v24, 0x64006400, v24
	v_or_b32_e32 v25, 0x64006400, v25
	v_pk_fma_f16 v1, v3, v71, v1
	v_pk_fma_f16 v71, v29, s19, v7 op_sel_hi:[1,0,1]
	v_and_b32_e32 v29, 0xf000f, v26
	v_and_b32_e32 v26, 0xf000f0, v26
	v_pk_add_f16 v64, v62, v24
	v_pk_fma_f16 v65, v25, s19, v13 op_sel_hi:[1,0,1]
	ds_read2_b32 v[24:25], v28 offset0:12 offset1:13
	v_or_b32_e32 v26, 0x64006400, v26
	v_pk_fma_f16 v69, v26, s19, v14 op_sel_hi:[1,0,1]
	v_lshrrev_b32_e32 v26, 8, v27
	v_and_b32_e32 v27, 0xf000f, v26
	v_and_b32_e32 v26, 0xf000f0, v26
	v_or_b32_e32 v29, 0x64006400, v29
	v_or_b32_e32 v26, 0x64006400, v26
	;; [unrolled: 1-line block ×3, first 2 shown]
	v_pk_add_f16 v68, v60, v29
	v_or_b32_e32 v27, 0x64006400, v27
	v_pk_fma_f16 v29, v26, s19, v13 op_sel_hi:[1,0,1]
	s_waitcnt lgkmcnt(0)
	v_pk_fma_f16 v26, v77, v24, 0
	v_pk_add_f16 v72, v61, v30
	v_pk_add_f16 v63, v62, v27
	v_pk_fma_f16 v30, v76, v25, v26
	ds_read2_b32 v[26:27], v28 offset0:14 offset1:15
	v_or_b32_e32 v31, 0x64006400, v31
	v_pk_add_f16 v74, v59, v31
	v_cvt_f32_f16_sdwa v3, v1 dst_sel:DWORD dst_unused:UNUSED_PAD src0_sel:WORD_1
	v_cvt_f32_f16_e32 v1, v1
	s_waitcnt lgkmcnt(0)
	v_pk_fma_f16 v30, v74, v26, v30
	v_pk_add_f32 v[0:1], v[0:1], v[2:3]
	v_pk_fma_f16 v30, v75, v27, v30
	v_pk_fma_f32 v[0:1], v[0:1], v[10:11], v[4:5]
	v_cvt_f32_f16_e32 v31, v30
	v_cvt_f32_f16_sdwa v30, v30 dst_sel:DWORD dst_unused:UNUSED_PAD src0_sel:WORD_1
	v_add_f32_e32 v30, v30, v31
	v_fmac_f32_e32 v52, v30, v57
	v_pk_fma_f16 v30, v70, v24, 0
	s_nop 0
	v_pk_fma_f16 v30, v71, v25, v30
	s_nop 0
	;; [unrolled: 2-line block ×4, first 2 shown]
	v_cvt_f32_f16_e32 v31, v30
	v_cvt_f32_f16_sdwa v30, v30 dst_sel:DWORD dst_unused:UNUSED_PAD src0_sel:WORD_1
	v_add_f32_e32 v30, v30, v31
	v_fmac_f32_e32 v53, v30, v58
	v_pk_fma_f16 v30, v66, v24, 0
	v_pk_fma_f16 v24, v64, v24, 0
	v_pk_fma_f16 v30, v67, v25, v30
	v_pk_fma_f16 v24, v65, v25, v24
	v_pk_fma_f16 v30, v68, v26, v30
	v_pk_fma_f16 v24, v63, v26, v24
	v_pk_fma_f16 v30, v69, v27, v30
	v_pk_fma_f16 v24, v29, v27, v24
	v_cvt_f32_f16_e32 v31, v30
	v_cvt_f32_f16_e32 v25, v24
	v_cvt_f32_f16_sdwa v24, v24 dst_sel:DWORD dst_unused:UNUSED_PAD src0_sel:WORD_1
	v_cvt_f32_f16_sdwa v30, v30 dst_sel:DWORD dst_unused:UNUSED_PAD src0_sel:WORD_1
	v_add_f32_e32 v24, v24, v25
	v_fmac_f32_e32 v51, v24, v11
	ds_read2_b32 v[24:25], v28 offset0:76 offset1:77
	v_add_f32_e32 v30, v30, v31
	v_fmac_f32_e32 v50, v30, v10
	s_waitcnt lgkmcnt(0)
	v_pk_fma_f16 v26, v77, v24, 0
	s_nop 0
	v_pk_fma_f16 v30, v76, v25, v26
	ds_read2_b32 v[26:27], v28 offset0:78 offset1:79
	s_waitcnt lgkmcnt(0)
	v_pk_fma_f16 v30, v74, v26, v30
	s_nop 0
	v_pk_fma_f16 v30, v75, v27, v30
	s_nop 0
	v_cvt_f32_f16_e32 v31, v30
	v_cvt_f32_f16_sdwa v30, v30 dst_sel:DWORD dst_unused:UNUSED_PAD src0_sel:WORD_1
	v_add_f32_e32 v30, v30, v31
	v_fmac_f32_e32 v48, v30, v57
	v_pk_fma_f16 v30, v70, v24, 0
	s_nop 0
	v_pk_fma_f16 v30, v71, v25, v30
	s_nop 0
	v_pk_fma_f16 v30, v72, v26, v30
	s_nop 0
	v_pk_fma_f16 v30, v73, v27, v30
	s_nop 0
	v_cvt_f32_f16_e32 v31, v30
	v_cvt_f32_f16_sdwa v30, v30 dst_sel:DWORD dst_unused:UNUSED_PAD src0_sel:WORD_1
	v_add_f32_e32 v30, v30, v31
	v_fmac_f32_e32 v49, v30, v58
	v_pk_fma_f16 v30, v66, v24, 0
	v_pk_fma_f16 v24, v64, v24, 0
	;; [unrolled: 1-line block ×8, first 2 shown]
	v_cvt_f32_f16_e32 v31, v30
	v_cvt_f32_f16_e32 v25, v24
	v_cvt_f32_f16_sdwa v24, v24 dst_sel:DWORD dst_unused:UNUSED_PAD src0_sel:WORD_1
	v_cvt_f32_f16_sdwa v30, v30 dst_sel:DWORD dst_unused:UNUSED_PAD src0_sel:WORD_1
	v_add_f32_e32 v24, v24, v25
	v_fmac_f32_e32 v46, v24, v11
	ds_read2_b32 v[24:25], v28 offset0:140 offset1:141
	v_add_f32_e32 v30, v30, v31
	v_fmac_f32_e32 v45, v30, v10
	s_waitcnt lgkmcnt(0)
	v_pk_fma_f16 v26, v77, v24, 0
	s_nop 0
	v_pk_fma_f16 v30, v76, v25, v26
	ds_read2_b32 v[26:27], v28 offset0:142 offset1:143
	s_waitcnt lgkmcnt(0)
	v_pk_fma_f16 v30, v74, v26, v30
	s_nop 0
	v_pk_fma_f16 v30, v75, v27, v30
	s_nop 0
	v_cvt_f32_f16_e32 v31, v30
	v_cvt_f32_f16_sdwa v30, v30 dst_sel:DWORD dst_unused:UNUSED_PAD src0_sel:WORD_1
	v_add_f32_e32 v30, v30, v31
	v_fmac_f32_e32 v43, v30, v57
	v_pk_fma_f16 v30, v70, v24, 0
	s_nop 0
	v_pk_fma_f16 v30, v71, v25, v30
	s_nop 0
	;; [unrolled: 2-line block ×4, first 2 shown]
	v_cvt_f32_f16_e32 v31, v30
	v_cvt_f32_f16_sdwa v30, v30 dst_sel:DWORD dst_unused:UNUSED_PAD src0_sel:WORD_1
	v_add_f32_e32 v30, v30, v31
	v_fmac_f32_e32 v44, v30, v58
	v_pk_fma_f16 v30, v66, v24, 0
	v_pk_fma_f16 v24, v64, v24, 0
	;; [unrolled: 1-line block ×8, first 2 shown]
	ds_read2_b32 v[26:27], v28 offset0:204 offset1:205
	v_cvt_f32_f16_e32 v25, v24
	v_cvt_f32_f16_sdwa v24, v24 dst_sel:DWORD dst_unused:UNUSED_PAD src0_sel:WORD_1
	v_cvt_f32_f16_e32 v31, v30
	v_cvt_f32_f16_sdwa v30, v30 dst_sel:DWORD dst_unused:UNUSED_PAD src0_sel:WORD_1
	v_add_f32_e32 v24, v24, v25
	v_fmac_f32_e32 v42, v24, v11
	v_add_f32_e32 v30, v30, v31
	s_waitcnt lgkmcnt(0)
	v_pk_fma_f16 v24, v77, v26, 0
	v_fmac_f32_e32 v41, v30, v10
	v_pk_fma_f16 v30, v76, v27, v24
	ds_read2_b32 v[24:25], v28 offset0:206 offset1:207
	s_waitcnt lgkmcnt(0)
	v_pk_fma_f16 v28, v74, v24, v30
	s_nop 0
	v_pk_fma_f16 v28, v75, v25, v28
	s_nop 0
	v_cvt_f32_f16_e32 v30, v28
	v_cvt_f32_f16_sdwa v28, v28 dst_sel:DWORD dst_unused:UNUSED_PAD src0_sel:WORD_1
	v_add_f32_e32 v28, v28, v30
	v_fmac_f32_e32 v39, v28, v57
	v_pk_fma_f16 v28, v70, v26, 0
	s_nop 0
	v_pk_fma_f16 v28, v71, v27, v28
	s_nop 0
	v_pk_fma_f16 v28, v72, v24, v28
	s_nop 0
	v_pk_fma_f16 v28, v73, v25, v28
	s_nop 0
	v_cvt_f32_f16_e32 v30, v28
	v_cvt_f32_f16_sdwa v28, v28 dst_sel:DWORD dst_unused:UNUSED_PAD src0_sel:WORD_1
	v_add_f32_e32 v28, v28, v30
	v_fmac_f32_e32 v40, v28, v58
	v_pk_fma_f16 v28, v66, v26, 0
	v_pk_fma_f16 v26, v64, v26, 0
	;; [unrolled: 1-line block ×8, first 2 shown]
	v_cvt_f32_f16_e32 v30, v28
	v_cvt_f32_f16_e32 v25, v24
	v_cvt_f32_f16_sdwa v24, v24 dst_sel:DWORD dst_unused:UNUSED_PAD src0_sel:WORD_1
	v_cvt_f32_f16_sdwa v28, v28 dst_sel:DWORD dst_unused:UNUSED_PAD src0_sel:WORD_1
	v_add_f32_e32 v24, v24, v25
	v_fmac_f32_e32 v38, v24, v11
	v_mov_b32_e32 v24, s9
	ds_read2_b32 v[24:25], v24 offset1:1
	v_add_f32_e32 v28, v28, v30
	s_add_i32 s9, s6, 0x438
	v_fmac_f32_e32 v37, v28, v10
	s_waitcnt lgkmcnt(0)
	v_pk_fma_f16 v26, v77, v24, 0
	s_nop 0
	v_pk_fma_f16 v28, v76, v25, v26
	v_mov_b32_e32 v26, s9
	ds_read2_b32 v[26:27], v26 offset1:1
	s_add_i32 s9, s6, 0x530
	s_waitcnt lgkmcnt(0)
	v_pk_fma_f16 v28, v74, v26, v28
	s_nop 0
	v_pk_fma_f16 v28, v75, v27, v28
	s_nop 0
	v_cvt_f32_f16_e32 v30, v28
	v_cvt_f32_f16_sdwa v28, v28 dst_sel:DWORD dst_unused:UNUSED_PAD src0_sel:WORD_1
	v_add_f32_e32 v28, v28, v30
	v_fmac_f32_e32 v35, v28, v57
	v_pk_fma_f16 v28, v70, v24, 0
	s_nop 0
	v_pk_fma_f16 v28, v71, v25, v28
	s_nop 0
	;; [unrolled: 2-line block ×4, first 2 shown]
	v_cvt_f32_f16_e32 v30, v28
	v_cvt_f32_f16_sdwa v28, v28 dst_sel:DWORD dst_unused:UNUSED_PAD src0_sel:WORD_1
	v_add_f32_e32 v28, v28, v30
	v_fmac_f32_e32 v36, v28, v58
	v_pk_fma_f16 v28, v66, v24, 0
	v_pk_fma_f16 v24, v64, v24, 0
	;; [unrolled: 1-line block ×8, first 2 shown]
	v_cvt_f32_f16_e32 v30, v28
	v_cvt_f32_f16_e32 v25, v24
	v_cvt_f32_f16_sdwa v24, v24 dst_sel:DWORD dst_unused:UNUSED_PAD src0_sel:WORD_1
	v_cvt_f32_f16_sdwa v28, v28 dst_sel:DWORD dst_unused:UNUSED_PAD src0_sel:WORD_1
	v_add_f32_e32 v24, v24, v25
	v_fmac_f32_e32 v32, v24, v11
	v_mov_b32_e32 v24, s9
	v_add_f32_e32 v28, v28, v30
	ds_read2_b32 v[30:31], v24 offset1:1
	s_add_i32 s9, s6, 0x538
	v_fmac_f32_e32 v33, v28, v10
	s_add_i32 s6, s6, 64
	s_cmp_ge_i32 s25, s26
	s_waitcnt lgkmcnt(0)
	v_pk_fma_f16 v24, v77, v30, 0
	s_nop 0
	v_pk_fma_f16 v26, v76, v31, v24
	v_mov_b32_e32 v24, s9
	ds_read2_b32 v[24:25], v24 offset1:1
	s_waitcnt lgkmcnt(0)
	v_pk_fma_f16 v26, v74, v24, v26
	s_nop 0
	v_pk_fma_f16 v26, v75, v25, v26
	s_nop 0
	v_cvt_f32_f16_e32 v27, v26
	v_cvt_f32_f16_sdwa v26, v26 dst_sel:DWORD dst_unused:UNUSED_PAD src0_sel:WORD_1
	v_add_f32_e32 v26, v26, v27
	v_fmac_f32_e32 v15, v26, v57
	v_pk_fma_f16 v26, v70, v30, 0
	s_nop 0
	v_pk_fma_f16 v26, v71, v31, v26
	s_nop 0
	;; [unrolled: 2-line block ×4, first 2 shown]
	v_cvt_f32_f16_e32 v27, v26
	v_cvt_f32_f16_sdwa v26, v26 dst_sel:DWORD dst_unused:UNUSED_PAD src0_sel:WORD_1
	v_add_f32_e32 v26, v26, v27
	v_fmac_f32_e32 v34, v26, v58
	v_pk_fma_f16 v26, v66, v30, 0
	s_nop 0
	v_pk_fma_f16 v26, v67, v31, v26
	s_nop 0
	;; [unrolled: 2-line block ×4, first 2 shown]
	v_cvt_f32_f16_e32 v26, v27
	v_cvt_f32_f16_sdwa v28, v27 dst_sel:DWORD dst_unused:UNUSED_PAD src0_sel:WORD_1
	v_pk_fma_f16 v27, v64, v30, 0
	s_nop 0
	v_pk_fma_f16 v27, v65, v31, v27
	s_nop 0
	;; [unrolled: 2-line block ×4, first 2 shown]
	v_cvt_f32_f16_sdwa v29, v24 dst_sel:DWORD dst_unused:UNUSED_PAD src0_sel:WORD_1
	v_cvt_f32_f16_e32 v27, v24
	v_pk_add_f32 v[2:3], v[26:27], v[28:29]
	s_nop 0
	v_pk_fma_f32 v[4:5], v[2:3], v[10:11], v[0:1]
	s_cbranch_scc1 .LBB37_20
.LBB37_18:                              ; =>This Inner Loop Header: Depth=1
	s_cmp_lg_u32 s25, s8
	s_cbranch_scc1 .LBB37_17
; %bb.19:                               ;   in Loop: Header=BB37_18 Depth=1
	s_add_i32 s5, s5, 1
	s_mul_i32 s9, s5, s16
	s_ashr_i32 s17, s9, 31
	s_lshr_b32 s17, s17, 29
	s_add_i32 s17, s9, s17
	s_ashr_i32 s17, s17, 3
	v_add_u32_e32 v0, s9, v6
	v_add_u32_e32 v2, s17, v47
	v_ashrrev_i32_e32 v1, 31, v0
	v_ashrrev_i32_e32 v3, 31, v2
	v_lshl_add_u64 v[0:1], v[0:1], 1, s[12:13]
	v_lshl_add_u64 v[2:3], v[2:3], 2, s[10:11]
	global_load_dwordx2 v[0:1], v[0:1], off
	s_add_i32 s8, s8, s4
	global_load_dword v2, v[2:3], off
	s_waitcnt vmcnt(1)
	v_cvt_f32_f16_e32 v57, v0
	v_cvt_f32_f16_sdwa v58, v0 dst_sel:DWORD dst_unused:UNUSED_PAD src0_sel:WORD_1
	s_waitcnt vmcnt(0)
	v_lshrrev_b32_e32 v0, v55, v2
	v_cvt_f32_f16_e32 v10, v1
	v_cvt_f32_f16_sdwa v11, v1 dst_sel:DWORD dst_unused:UNUSED_PAD src0_sel:WORD_1
	v_lshrrev_b32_e32 v1, 4, v0
	v_and_b32_e32 v2, 15, v0
	v_lshrrev_b32_e32 v3, 12, v0
	v_lshrrev_b32_e32 v0, 8, v0
	v_and_b32_e32 v1, 15, v1
	v_and_b32_e32 v3, 15, v3
	;; [unrolled: 1-line block ×3, first 2 shown]
	v_add_u32_e32 v2, v2, v56
	v_add_u32_e32 v1, v1, v56
	;; [unrolled: 1-line block ×4, first 2 shown]
	v_mad_u32_u24 v59, v2, s18, v54
	v_cvt_f32_ubyte0_e32 v2, v2
	v_cvt_f32_ubyte0_e32 v7, v1
	v_mad_u32_u24 v61, v1, s18, v54
	v_mad_u32_u24 v60, v0, s18, v54
	v_cvt_f32_ubyte0_e32 v1, v3
	v_cvt_f32_ubyte0_e32 v0, v0
	v_cvt_pk_f16_f32 v2, v2, v7
	v_cvt_pk_f16_f32 v0, v0, v1
	v_pk_add_f16 v1, v2, s7 op_sel_hi:[1,0] neg_lo:[1,0] neg_hi:[1,0]
	v_pk_add_f16 v0, v0, s7 op_sel_hi:[1,0] neg_lo:[1,0] neg_hi:[1,0]
	v_mad_u32_u24 v62, v3, s18, v54
	v_mul_u32_u24_sdwa v12, v1, s18 dst_sel:DWORD dst_unused:UNUSED_PAD src0_sel:WORD_0 src1_sel:DWORD
	v_mul_u32_u24_sdwa v7, v1, s18 dst_sel:DWORD dst_unused:UNUSED_PAD src0_sel:WORD_1 src1_sel:DWORD
	v_mul_u32_u24_sdwa v14, v0, s18 dst_sel:DWORD dst_unused:UNUSED_PAD src0_sel:WORD_0 src1_sel:DWORD
	v_mul_u32_u24_sdwa v13, v0, s18 dst_sel:DWORD dst_unused:UNUSED_PAD src0_sel:WORD_1 src1_sel:DWORD
	s_branch .LBB37_17
.LBB37_20:
	s_mul_i32 s24, s24, s16
	v_add_u32_e32 v0, s24, v6
	v_ashrrev_i32_e32 v1, 31, v0
	v_lshl_add_u64 v[2:3], v[0:1], 1, s[14:15]
	global_load_dword v7, v[2:3], off
	v_cvt_pk_f16_f32 v1, v52, v53
	s_mov_b64 s[0:1], 0
.LBB37_21:                              ; =>This Inner Loop Header: Depth=1
	s_waitcnt vmcnt(0)
	v_pk_add_f16 v6, v1, v7
	global_atomic_cmpswap v6, v[2:3], v[6:7], off sc0
	s_waitcnt vmcnt(0)
	v_cmp_eq_u32_e32 vcc, v7, v6
	s_or_b64 s[0:1], vcc, s[0:1]
	v_mov_b32_e32 v7, v6
	s_andn2_b64 exec, exec, s[0:1]
	s_cbranch_execnz .LBB37_21
; %bb.22:
	s_or_b64 exec, exec, s[0:1]
	global_load_dword v7, v[2:3], off offset:4
	v_cvt_pk_f16_f32 v1, v50, v51
	s_mov_b64 s[0:1], 0
.LBB37_23:                              ; =>This Inner Loop Header: Depth=1
	s_waitcnt vmcnt(0)
	v_pk_add_f16 v6, v1, v7
	global_atomic_cmpswap v6, v[2:3], v[6:7], off offset:4 sc0
	s_waitcnt vmcnt(0)
	v_cmp_eq_u32_e32 vcc, v7, v6
	s_or_b64 s[0:1], vcc, s[0:1]
	v_mov_b32_e32 v7, v6
	s_andn2_b64 exec, exec, s[0:1]
	s_cbranch_execnz .LBB37_23
; %bb.24:
	s_or_b64 exec, exec, s[0:1]
	v_add_u32_e32 v0, s16, v0
	v_ashrrev_i32_e32 v1, 31, v0
	v_lshl_add_u64 v[2:3], v[0:1], 1, s[14:15]
	global_load_dword v7, v[2:3], off
	v_cvt_pk_f16_f32 v1, v48, v49
	s_mov_b64 s[0:1], 0
.LBB37_25:                              ; =>This Inner Loop Header: Depth=1
	s_waitcnt vmcnt(0)
	v_pk_add_f16 v6, v1, v7
	global_atomic_cmpswap v6, v[2:3], v[6:7], off sc0
	s_waitcnt vmcnt(0)
	v_cmp_eq_u32_e32 vcc, v7, v6
	s_or_b64 s[0:1], vcc, s[0:1]
	v_mov_b32_e32 v7, v6
	s_andn2_b64 exec, exec, s[0:1]
	s_cbranch_execnz .LBB37_25
; %bb.26:
	s_or_b64 exec, exec, s[0:1]
	global_load_dword v7, v[2:3], off offset:4
	v_cvt_pk_f16_f32 v1, v45, v46
	s_mov_b64 s[0:1], 0
.LBB37_27:                              ; =>This Inner Loop Header: Depth=1
	s_waitcnt vmcnt(0)
	v_pk_add_f16 v6, v1, v7
	global_atomic_cmpswap v6, v[2:3], v[6:7], off offset:4 sc0
	s_waitcnt vmcnt(0)
	v_cmp_eq_u32_e32 vcc, v7, v6
	s_or_b64 s[0:1], vcc, s[0:1]
	v_mov_b32_e32 v7, v6
	s_andn2_b64 exec, exec, s[0:1]
	s_cbranch_execnz .LBB37_27
; %bb.28:
	s_or_b64 exec, exec, s[0:1]
	;; [unrolled: 33-line block ×5, first 2 shown]
	v_add_u32_e32 v0, s16, v0
	v_ashrrev_i32_e32 v1, 31, v0
	v_lshl_add_u64 v[0:1], v[0:1], 1, s[14:15]
	global_load_dword v3, v[0:1], off
	v_cvt_pk_f16_f32 v6, v15, v34
	s_mov_b64 s[0:1], 0
.LBB37_41:                              ; =>This Inner Loop Header: Depth=1
	s_waitcnt vmcnt(0)
	v_pk_add_f16 v2, v6, v3
	global_atomic_cmpswap v2, v[0:1], v[2:3], off sc0
	s_waitcnt vmcnt(0)
	v_cmp_eq_u32_e32 vcc, v3, v2
	s_or_b64 s[0:1], vcc, s[0:1]
	v_mov_b32_e32 v3, v2
	s_andn2_b64 exec, exec, s[0:1]
	s_cbranch_execnz .LBB37_41
; %bb.42:
	s_or_b64 exec, exec, s[0:1]
	global_load_dword v3, v[0:1], off offset:4
	v_cvt_pk_f16_f32 v4, v4, v5
	s_mov_b64 s[0:1], 0
.LBB37_43:                              ; =>This Inner Loop Header: Depth=1
	s_waitcnt vmcnt(0)
	v_pk_add_f16 v2, v4, v3
	global_atomic_cmpswap v2, v[0:1], v[2:3], off offset:4 sc0
	s_waitcnt vmcnt(0)
	v_cmp_eq_u32_e32 vcc, v3, v2
	s_or_b64 s[0:1], vcc, s[0:1]
	v_mov_b32_e32 v3, v2
	s_andn2_b64 exec, exec, s[0:1]
	s_cbranch_execnz .LBB37_43
.LBB37_44:
	s_endpgm
	.section	.rodata,"a",@progbits
	.p2align	6, 0x0
	.amdhsa_kernel _ZN4vllm4gptq33gemm_half_q_half_gptq_4bit_kernelILb1ELi6EEEvPK6__halfPKjS6_S4_PS2_iiiibPKi
		.amdhsa_group_segment_fixed_size 1536
		.amdhsa_private_segment_fixed_size 0
		.amdhsa_kernarg_size 72
		.amdhsa_user_sgpr_count 2
		.amdhsa_user_sgpr_dispatch_ptr 0
		.amdhsa_user_sgpr_queue_ptr 0
		.amdhsa_user_sgpr_kernarg_segment_ptr 1
		.amdhsa_user_sgpr_dispatch_id 0
		.amdhsa_user_sgpr_kernarg_preload_length 0
		.amdhsa_user_sgpr_kernarg_preload_offset 0
		.amdhsa_user_sgpr_private_segment_size 0
		.amdhsa_uses_dynamic_stack 0
		.amdhsa_enable_private_segment 0
		.amdhsa_system_sgpr_workgroup_id_x 1
		.amdhsa_system_sgpr_workgroup_id_y 1
		.amdhsa_system_sgpr_workgroup_id_z 1
		.amdhsa_system_sgpr_workgroup_info 0
		.amdhsa_system_vgpr_workitem_id 0
		.amdhsa_next_free_vgpr 78
		.amdhsa_next_free_sgpr 27
		.amdhsa_accum_offset 80
		.amdhsa_reserve_vcc 1
		.amdhsa_float_round_mode_32 0
		.amdhsa_float_round_mode_16_64 0
		.amdhsa_float_denorm_mode_32 3
		.amdhsa_float_denorm_mode_16_64 3
		.amdhsa_dx10_clamp 1
		.amdhsa_ieee_mode 1
		.amdhsa_fp16_overflow 0
		.amdhsa_tg_split 0
		.amdhsa_exception_fp_ieee_invalid_op 0
		.amdhsa_exception_fp_denorm_src 0
		.amdhsa_exception_fp_ieee_div_zero 0
		.amdhsa_exception_fp_ieee_overflow 0
		.amdhsa_exception_fp_ieee_underflow 0
		.amdhsa_exception_fp_ieee_inexact 0
		.amdhsa_exception_int_div_zero 0
	.end_amdhsa_kernel
	.section	.text._ZN4vllm4gptq33gemm_half_q_half_gptq_4bit_kernelILb1ELi6EEEvPK6__halfPKjS6_S4_PS2_iiiibPKi,"axG",@progbits,_ZN4vllm4gptq33gemm_half_q_half_gptq_4bit_kernelILb1ELi6EEEvPK6__halfPKjS6_S4_PS2_iiiibPKi,comdat
.Lfunc_end37:
	.size	_ZN4vllm4gptq33gemm_half_q_half_gptq_4bit_kernelILb1ELi6EEEvPK6__halfPKjS6_S4_PS2_iiiibPKi, .Lfunc_end37-_ZN4vllm4gptq33gemm_half_q_half_gptq_4bit_kernelILb1ELi6EEEvPK6__halfPKjS6_S4_PS2_iiiibPKi
                                        ; -- End function
	.set _ZN4vllm4gptq33gemm_half_q_half_gptq_4bit_kernelILb1ELi6EEEvPK6__halfPKjS6_S4_PS2_iiiibPKi.num_vgpr, 78
	.set _ZN4vllm4gptq33gemm_half_q_half_gptq_4bit_kernelILb1ELi6EEEvPK6__halfPKjS6_S4_PS2_iiiibPKi.num_agpr, 0
	.set _ZN4vllm4gptq33gemm_half_q_half_gptq_4bit_kernelILb1ELi6EEEvPK6__halfPKjS6_S4_PS2_iiiibPKi.numbered_sgpr, 27
	.set _ZN4vllm4gptq33gemm_half_q_half_gptq_4bit_kernelILb1ELi6EEEvPK6__halfPKjS6_S4_PS2_iiiibPKi.num_named_barrier, 0
	.set _ZN4vllm4gptq33gemm_half_q_half_gptq_4bit_kernelILb1ELi6EEEvPK6__halfPKjS6_S4_PS2_iiiibPKi.private_seg_size, 0
	.set _ZN4vllm4gptq33gemm_half_q_half_gptq_4bit_kernelILb1ELi6EEEvPK6__halfPKjS6_S4_PS2_iiiibPKi.uses_vcc, 1
	.set _ZN4vllm4gptq33gemm_half_q_half_gptq_4bit_kernelILb1ELi6EEEvPK6__halfPKjS6_S4_PS2_iiiibPKi.uses_flat_scratch, 0
	.set _ZN4vllm4gptq33gemm_half_q_half_gptq_4bit_kernelILb1ELi6EEEvPK6__halfPKjS6_S4_PS2_iiiibPKi.has_dyn_sized_stack, 0
	.set _ZN4vllm4gptq33gemm_half_q_half_gptq_4bit_kernelILb1ELi6EEEvPK6__halfPKjS6_S4_PS2_iiiibPKi.has_recursion, 0
	.set _ZN4vllm4gptq33gemm_half_q_half_gptq_4bit_kernelILb1ELi6EEEvPK6__halfPKjS6_S4_PS2_iiiibPKi.has_indirect_call, 0
	.section	.AMDGPU.csdata,"",@progbits
; Kernel info:
; codeLenInByte = 10932
; TotalNumSgprs: 33
; NumVgprs: 78
; NumAgprs: 0
; TotalNumVgprs: 78
; ScratchSize: 0
; MemoryBound: 0
; FloatMode: 240
; IeeeMode: 1
; LDSByteSize: 1536 bytes/workgroup (compile time only)
; SGPRBlocks: 4
; VGPRBlocks: 9
; NumSGPRsForWavesPerEU: 33
; NumVGPRsForWavesPerEU: 78
; AccumOffset: 80
; Occupancy: 6
; WaveLimiterHint : 0
; COMPUTE_PGM_RSRC2:SCRATCH_EN: 0
; COMPUTE_PGM_RSRC2:USER_SGPR: 2
; COMPUTE_PGM_RSRC2:TRAP_HANDLER: 0
; COMPUTE_PGM_RSRC2:TGID_X_EN: 1
; COMPUTE_PGM_RSRC2:TGID_Y_EN: 1
; COMPUTE_PGM_RSRC2:TGID_Z_EN: 1
; COMPUTE_PGM_RSRC2:TIDIG_COMP_CNT: 0
; COMPUTE_PGM_RSRC3_GFX90A:ACCUM_OFFSET: 19
; COMPUTE_PGM_RSRC3_GFX90A:TG_SPLIT: 0
	.section	.text._ZN4vllm4gptq33gemm_half_q_half_gptq_8bit_kernelILb1ELi6EEEvPK6__halfPKjS6_S4_PS2_iiiibPKi,"axG",@progbits,_ZN4vllm4gptq33gemm_half_q_half_gptq_8bit_kernelILb1ELi6EEEvPK6__halfPKjS6_S4_PS2_iiiibPKi,comdat
	.protected	_ZN4vllm4gptq33gemm_half_q_half_gptq_8bit_kernelILb1ELi6EEEvPK6__halfPKjS6_S4_PS2_iiiibPKi ; -- Begin function _ZN4vllm4gptq33gemm_half_q_half_gptq_8bit_kernelILb1ELi6EEEvPK6__halfPKjS6_S4_PS2_iiiibPKi
	.globl	_ZN4vllm4gptq33gemm_half_q_half_gptq_8bit_kernelILb1ELi6EEEvPK6__halfPKjS6_S4_PS2_iiiibPKi
	.p2align	8
	.type	_ZN4vllm4gptq33gemm_half_q_half_gptq_8bit_kernelILb1ELi6EEEvPK6__halfPKjS6_S4_PS2_iiiibPKi,@function
_ZN4vllm4gptq33gemm_half_q_half_gptq_8bit_kernelILb1ELi6EEEvPK6__halfPKjS6_S4_PS2_iiiibPKi: ; @_ZN4vllm4gptq33gemm_half_q_half_gptq_8bit_kernelILb1ELi6EEEvPK6__halfPKjS6_S4_PS2_iiiibPKi
; %bb.0:
	s_load_dwordx8 s[8:15], s[0:1], 0x8
	s_load_dwordx4 s[16:19], s[0:1], 0x2c
	s_lshl_b32 s24, s4, 7
	s_add_i32 s4, s24, 0x80
	v_cvt_f64_u32_e32 v[2:3], s4
	s_mul_i32 s3, s3, 6
	s_waitcnt lgkmcnt(0)
	v_cvt_f64_i32_e32 v[4:5], s17
	v_min_f64 v[2:3], v[2:3], v[4:5]
	v_cvt_i32_f64_e32 v1, v[2:3]
	v_add_u32_e32 v2, s24, v0
	v_readfirstlane_b32 s25, v1
	v_cmp_lt_u32_e32 vcc, v2, v1
	s_and_saveexec_b64 s[4:5], vcc
	s_cbranch_execz .LBB38_14
; %bb.1:
	s_load_dwordx2 s[22:23], s[0:1], 0x40
	s_load_dwordx2 s[6:7], s[0:1], 0x0
	v_mov_b32_e32 v3, 0
	v_mov_b64_e32 v[6:7], v[2:3]
	s_waitcnt lgkmcnt(0)
	s_cmp_lg_u64 s[22:23], 0
	s_cselect_b64 s[20:21], -1, 0
	s_cmp_eq_u64 s[22:23], 0
	v_lshl_add_u64 v[4:5], v[2:3], 2, s[22:23]
	s_cbranch_scc1 .LBB38_3
; %bb.2:
	global_load_dword v6, v[4:5], off
	s_waitcnt vmcnt(0)
	v_ashrrev_i32_e32 v7, 31, v6
.LBB38_3:
	s_mul_i32 s22, s3, s17
	s_ashr_i32 s23, s22, 31
	s_lshl_b64 s[0:1], s[22:23], 1
	s_add_u32 s0, s6, s0
	s_addc_u32 s1, s7, s1
	v_lshl_add_u64 v[6:7], v[6:7], 1, s[0:1]
	global_load_ushort v6, v[6:7], off
	v_lshlrev_b32_e32 v1, 1, v0
	v_cndmask_b32_e64 v7, 0, 1, s[20:21]
	v_cmp_ne_u32_e64 s[0:1], 1, v7
	s_andn2_b64 vcc, exec, s[20:21]
	s_waitcnt vmcnt(0)
	ds_write_b16 v1, v6
	v_mov_b64_e32 v[6:7], v[2:3]
	s_cbranch_vccnz .LBB38_5
; %bb.4:
	global_load_dword v6, v[4:5], off
	s_waitcnt vmcnt(0)
	v_ashrrev_i32_e32 v7, 31, v6
.LBB38_5:
	s_add_i32 s20, s22, s17
	s_ashr_i32 s21, s20, 31
	s_lshl_b64 s[22:23], s[20:21], 1
	s_add_u32 s22, s6, s22
	s_addc_u32 s23, s7, s23
	v_lshl_add_u64 v[6:7], v[6:7], 1, s[22:23]
	global_load_ushort v6, v[6:7], off
	s_and_b64 vcc, exec, s[0:1]
	s_waitcnt vmcnt(0)
	ds_write_b16 v1, v6 offset:256
	v_mov_b64_e32 v[6:7], v[2:3]
	s_cbranch_vccnz .LBB38_7
; %bb.6:
	global_load_dword v6, v[4:5], off
	s_waitcnt vmcnt(0)
	v_ashrrev_i32_e32 v7, 31, v6
.LBB38_7:
	s_add_i32 s20, s20, s17
	s_ashr_i32 s21, s20, 31
	s_lshl_b64 s[22:23], s[20:21], 1
	s_add_u32 s22, s6, s22
	s_addc_u32 s23, s7, s23
	v_lshl_add_u64 v[6:7], v[6:7], 1, s[22:23]
	global_load_ushort v6, v[6:7], off
	s_and_b64 vcc, exec, s[0:1]
	s_waitcnt vmcnt(0)
	ds_write_b16 v1, v6 offset:512
	;; [unrolled: 17-line block ×4, first 2 shown]
	s_cbranch_vccnz .LBB38_13
; %bb.12:
	global_load_dword v2, v[4:5], off
	s_waitcnt vmcnt(0)
	v_ashrrev_i32_e32 v3, 31, v2
.LBB38_13:
	s_add_i32 s0, s20, s17
	s_ashr_i32 s1, s0, 31
	s_lshl_b64 s[0:1], s[0:1], 1
	s_add_u32 s0, s6, s0
	s_addc_u32 s1, s7, s1
	v_lshl_add_u64 v[2:3], v[2:3], 1, s[0:1]
	global_load_ushort v2, v[2:3], off
	s_waitcnt vmcnt(0)
	ds_write_b16 v1, v2 offset:1280
.LBB38_14:
	s_or_b64 exec, exec, s[4:5]
	v_lshlrev_b32_e32 v0, 2, v0
	v_lshl_add_u32 v16, s2, 9, v0
	v_cmp_gt_i32_e32 vcc, s16, v16
	s_and_saveexec_b64 s[0:1], vcc
	s_cbranch_execz .LBB38_44
; %bb.15:
	s_abs_i32 s0, s18
	v_cvt_f32_u32_e32 v0, s0
	s_mov_b32 s2, 0
	v_mov_b32_e32 v15, 0
	v_mov_b32_e32 v14, 0
	v_rcp_iflag_f32_e32 v0, v0
	v_mov_b32_e32 v55, 0
	v_mov_b32_e32 v54, 0
	s_cmp_ge_i32 s24, s25
	v_mul_f32_e32 v0, 0x4f7ffffe, v0
	v_cvt_u32_f32_e32 v0, v0
	v_mov_b32_e32 v57, 0
	v_mov_b32_e32 v56, 0
	;; [unrolled: 1-line block ×3, first 2 shown]
	v_readfirstlane_b32 s1, v0
	v_mov_b32_e32 v58, 0
	v_mov_b32_e32 v61, 0
	;; [unrolled: 1-line block ×5, first 2 shown]
	s_waitcnt lgkmcnt(0)
	s_barrier
	s_cbranch_scc1 .LBB38_20
; %bb.16:
	s_sub_i32 s7, 0, s0
	s_mul_i32 s7, s7, s1
	s_mul_hi_u32 s7, s1, s7
	s_abs_i32 s6, s17
	s_add_i32 s1, s1, s7
	s_ashr_i32 s4, s17, 31
	s_ashr_i32 s5, s18, 31
	s_mul_hi_u32 s1, s6, s1
	s_xor_b32 s4, s4, s5
	s_mul_i32 s5, s1, s0
	s_sub_i32 s5, s6, s5
	s_add_i32 s6, s1, 1
	s_sub_i32 s7, s5, s0
	s_cmp_ge_u32 s5, s0
	s_cselect_b32 s1, s6, s1
	s_cselect_b32 s5, s7, s5
	s_add_i32 s6, s1, 1
	s_cmp_ge_u32 s5, s0
	s_cselect_b32 s0, s6, s1
	s_xor_b32 s0, s0, s4
	s_sub_i32 s4, s0, s4
	v_cvt_f32_u32_e32 v0, s4
	s_bitcmp1_b32 s19, 0
	s_cselect_b64 s[0:1], -1, 0
	s_sub_i32 s5, 0, s4
	v_rcp_iflag_f32_e32 v0, v0
	s_xor_b64 s[0:1], s[0:1], -1
	v_ashrrev_i32_e32 v22, 2, v16
	v_cndmask_b32_e64 v23, 0, 1, s[0:1]
	v_mul_f32_e32 v0, 0x4f7ffffe, v0
	v_cvt_u32_f32_e32 v0, v0
	v_ashrrev_i32_e32 v17, 31, v16
	v_mov_b32_e32 v32, 0
	v_mov_b32_e32 v20, 0
	v_readfirstlane_b32 s6, v0
	s_mul_i32 s5, s5, s6
	s_mul_hi_u32 s5, s6, s5
	s_add_i32 s6, s6, s5
	s_mul_hi_u32 s5, s24, s6
	s_mul_i32 s6, s5, s4
	s_sub_i32 s6, s24, s6
	s_add_i32 s7, s5, 1
	s_sub_i32 s17, s6, s4
	s_cmp_ge_u32 s6, s4
	s_cselect_b32 s5, s7, s5
	s_cselect_b32 s6, s17, s6
	s_add_i32 s7, s5, 1
	s_cmp_ge_u32 s6, s4
	s_cselect_b32 s5, s7, s5
	s_mul_i32 s6, s5, s16
	s_ashr_i32 s7, s6, 31
	s_lshr_b32 s7, s7, 30
	s_add_i32 s7, s6, s7
	s_ashr_i32 s7, s7, 2
	v_add_u32_e32 v0, s7, v22
	v_ashrrev_i32_e32 v1, 31, v0
	v_lshl_add_u64 v[0:1], v[0:1], 2, s[10:11]
	global_load_dword v2, v[0:1], off
	v_add_u32_e32 v0, s6, v16
	v_ashrrev_i32_e32 v1, 31, v0
	v_lshl_add_u64 v[0:1], v[0:1], 1, s[12:13]
	global_load_dwordx2 v[18:19], v[0:1], off
	s_lshr_b32 s0, s24, 2
	s_mul_i32 s0, s16, s0
	s_ashr_i32 s1, s0, 31
	s_lshl_b64 s[0:1], s[0:1], 2
	s_add_u32 s0, s8, s0
	s_addc_u32 s1, s9, s1
	s_ashr_i32 s17, s16, 31
	v_mov_b32_e32 v60, 0
	v_mov_b32_e32 v61, 0
	;; [unrolled: 1-line block ×9, first 2 shown]
	s_add_i32 s6, s4, s24
	v_lshl_add_u64 v[0:1], v[16:17], 2, s[0:1]
	s_lshl_b64 s[0:1], s[16:17], 2
	v_mov_b32_e32 v15, 0
	s_waitcnt vmcnt(1)
	v_and_b32_e32 v17, 0xff, v2
	v_bfe_u32 v24, v2, 8, 8
	v_bfe_u32 v25, v2, 16, 8
	v_lshrrev_b32_e32 v26, 24, v2
	s_branch .LBB38_18
.LBB38_17:                              ;   in Loop: Header=BB38_18 Depth=1
	global_load_dwordx4 v[4:7], v[0:1], off
	v_lshl_add_u64 v[12:13], v[0:1], 0, s[0:1]
	global_load_dwordx4 v[0:3], v[12:13], off
	v_add_u32_e32 v31, v17, v23
	v_add_u32_e32 v30, v24, v23
	;; [unrolled: 1-line block ×4, first 2 shown]
	v_mov_b32_e32 v27, s2
	v_lshl_add_u64 v[12:13], v[12:13], 0, s[0:1]
	s_add_i32 s2, s2, 64
	s_add_i32 s24, s24, 32
	s_cmp_ge_i32 s24, s25
	s_waitcnt vmcnt(1)
	v_sub_u32_sdwa v8, v4, v31 dst_sel:DWORD dst_unused:UNUSED_PAD src0_sel:BYTE_0 src1_sel:DWORD
	v_cvt_f32_i32_e32 v8, v8
	v_cvt_f16_f32_e32 v21, v8
	v_sub_u32_sdwa v8, v4, v31 dst_sel:DWORD dst_unused:UNUSED_PAD src0_sel:BYTE_1 src1_sel:DWORD
	v_cvt_f32_i32_e32 v8, v8
	v_cvt_f16_f32_e32 v33, v8
	v_sub_u32_sdwa v8, v4, v31 dst_sel:DWORD dst_unused:UNUSED_PAD src0_sel:BYTE_2 src1_sel:DWORD
	v_sub_u32_sdwa v4, v4, v31 dst_sel:DWORD dst_unused:UNUSED_PAD src0_sel:BYTE_3 src1_sel:DWORD
	v_cvt_f32_i32_e32 v4, v4
	v_cvt_f32_i32_e32 v8, v8
	v_cvt_f16_f32_e32 v35, v4
	s_waitcnt vmcnt(0)
	v_sub_u32_sdwa v4, v0, v31 dst_sel:DWORD dst_unused:UNUSED_PAD src0_sel:BYTE_0 src1_sel:DWORD
	v_cvt_f32_i32_e32 v4, v4
	v_cvt_f16_f32_e32 v34, v8
	v_cvt_f16_f32_e32 v36, v4
	v_sub_u32_sdwa v4, v0, v31 dst_sel:DWORD dst_unused:UNUSED_PAD src0_sel:BYTE_1 src1_sel:DWORD
	v_cvt_f32_i32_e32 v4, v4
	v_cvt_f16_f32_e32 v37, v4
	v_sub_u32_sdwa v4, v0, v31 dst_sel:DWORD dst_unused:UNUSED_PAD src0_sel:BYTE_2 src1_sel:DWORD
	v_sub_u32_sdwa v0, v0, v31 dst_sel:DWORD dst_unused:UNUSED_PAD src0_sel:BYTE_3 src1_sel:DWORD
	v_cvt_f32_i32_e32 v0, v0
	v_cvt_f32_i32_e32 v4, v4
	v_cvt_f16_f32_e32 v39, v0
	v_sub_u32_sdwa v0, v5, v30 dst_sel:DWORD dst_unused:UNUSED_PAD src0_sel:BYTE_0 src1_sel:DWORD
	v_cvt_f32_i32_e32 v0, v0
	v_cvt_f16_f32_e32 v38, v4
	v_cvt_f16_f32_e32 v40, v0
	v_sub_u32_sdwa v0, v5, v30 dst_sel:DWORD dst_unused:UNUSED_PAD src0_sel:BYTE_1 src1_sel:DWORD
	v_cvt_f32_i32_e32 v0, v0
	v_cvt_f16_f32_e32 v41, v0
	v_sub_u32_sdwa v0, v5, v30 dst_sel:DWORD dst_unused:UNUSED_PAD src0_sel:BYTE_2 src1_sel:DWORD
	v_cvt_f32_i32_e32 v0, v0
	v_cvt_f16_f32_e32 v42, v0
	v_sub_u32_sdwa v0, v5, v30 dst_sel:DWORD dst_unused:UNUSED_PAD src0_sel:BYTE_3 src1_sel:DWORD
	v_cvt_f32_i32_e32 v0, v0
	v_cvt_f16_f32_e32 v43, v0
	v_sub_u32_sdwa v0, v1, v30 dst_sel:DWORD dst_unused:UNUSED_PAD src0_sel:BYTE_0 src1_sel:DWORD
	v_cvt_f32_i32_e32 v0, v0
	v_cvt_f16_f32_e32 v44, v0
	v_sub_u32_sdwa v0, v1, v30 dst_sel:DWORD dst_unused:UNUSED_PAD src0_sel:BYTE_1 src1_sel:DWORD
	v_cvt_f32_i32_e32 v0, v0
	v_cvt_f16_f32_e32 v45, v0
	v_sub_u32_sdwa v0, v1, v30 dst_sel:DWORD dst_unused:UNUSED_PAD src0_sel:BYTE_2 src1_sel:DWORD
	v_cvt_f32_i32_e32 v0, v0
	v_cvt_f16_f32_e32 v46, v0
	v_sub_u32_sdwa v0, v1, v30 dst_sel:DWORD dst_unused:UNUSED_PAD src0_sel:BYTE_3 src1_sel:DWORD
	v_cvt_f32_i32_e32 v0, v0
	v_cvt_f16_f32_e32 v47, v0
	v_sub_u32_sdwa v0, v6, v29 dst_sel:DWORD dst_unused:UNUSED_PAD src0_sel:BYTE_0 src1_sel:DWORD
	v_cvt_f32_i32_e32 v0, v0
	;; [unrolled: 12-line block ×5, first 2 shown]
	v_cvt_f16_f32_e32 v88, v0
	v_sub_u32_sdwa v0, v3, v28 dst_sel:DWORD dst_unused:UNUSED_PAD src0_sel:BYTE_1 src1_sel:DWORD
	v_cvt_f32_i32_e32 v0, v0
	v_cvt_f16_f32_e32 v89, v0
	v_sub_u32_sdwa v0, v3, v28 dst_sel:DWORD dst_unused:UNUSED_PAD src0_sel:BYTE_2 src1_sel:DWORD
	v_cvt_f32_i32_e32 v0, v0
	v_cvt_f16_f32_e32 v90, v0
	v_sub_u32_sdwa v0, v3, v28 dst_sel:DWORD dst_unused:UNUSED_PAD src0_sel:BYTE_3 src1_sel:DWORD
	v_cvt_f32_i32_e32 v0, v0
	v_cvt_f16_f32_e32 v91, v0
	ds_read_b128 v[68:71], v27
	ds_read_b128 v[8:11], v27 offset:16
	ds_read_b128 v[4:7], v27 offset:32
	;; [unrolled: 1-line block ×4, first 2 shown]
	s_waitcnt lgkmcnt(4)
	v_fma_mix_f32 v72, v21, v68, 0 op_sel_hi:[1,1,0]
	s_nop 0
	v_fma_mix_f32 v72, v33, v68, v72 op_sel:[0,1,0] op_sel_hi:[1,1,0]
	s_nop 0
	v_fma_mix_f32 v72, v34, v69, v72 op_sel_hi:[1,1,0]
	s_nop 0
	v_fma_mix_f32 v72, v35, v69, v72 op_sel:[0,1,0] op_sel_hi:[1,1,0]
	s_nop 0
	;; [unrolled: 4-line block ×4, first 2 shown]
	v_fma_mixlo_f16 v72, v72, v18, 0 op_sel_hi:[0,1,0]
	v_add_f16_e32 v84, v15, v72
	v_fma_mix_f32 v72, v40, v68, 0 op_sel_hi:[1,1,0]
	s_nop 0
	v_fma_mix_f32 v72, v41, v68, v72 op_sel:[0,1,0] op_sel_hi:[1,1,0]
	s_nop 0
	v_fma_mix_f32 v72, v42, v69, v72 op_sel_hi:[1,1,0]
	s_nop 0
	v_fma_mix_f32 v72, v43, v69, v72 op_sel:[0,1,0] op_sel_hi:[1,1,0]
	s_nop 0
	;; [unrolled: 4-line block ×4, first 2 shown]
	v_fma_mixlo_f16 v72, v72, v18, 0 op_sel:[0,1,0] op_sel_hi:[0,1,0]
	v_add_f16_sdwa v85, v15, v72 dst_sel:DWORD dst_unused:UNUSED_PAD src0_sel:WORD_1 src1_sel:DWORD
	v_fma_mix_f32 v15, v48, v68, 0 op_sel_hi:[1,1,0]
	ds_read_b128 v[72:75], v27 offset:256
	v_fma_mix_f32 v15, v49, v68, v15 op_sel:[0,1,0] op_sel_hi:[1,1,0]
	s_nop 0
	v_fma_mix_f32 v15, v50, v69, v15 op_sel_hi:[1,1,0]
	s_nop 0
	v_fma_mix_f32 v15, v51, v69, v15 op_sel:[0,1,0] op_sel_hi:[1,1,0]
	s_nop 0
	v_fma_mix_f32 v15, v52, v70, v15 op_sel_hi:[1,1,0]
	s_nop 0
	;; [unrolled: 4-line block ×3, first 2 shown]
	v_fma_mix_f32 v15, v63, v71, v15 op_sel:[0,1,0] op_sel_hi:[1,1,0]
	s_nop 0
	v_fma_mixlo_f16 v15, v15, v19, 0 op_sel_hi:[0,1,0]
	v_add_f16_e32 v86, v14, v15
	v_fma_mix_f32 v15, v64, v68, 0 op_sel_hi:[1,1,0]
	s_nop 0
	v_fma_mix_f32 v15, v65, v68, v15 op_sel:[0,1,0] op_sel_hi:[1,1,0]
	s_nop 0
	v_fma_mix_f32 v15, v66, v69, v15 op_sel_hi:[1,1,0]
	s_nop 0
	v_fma_mix_f32 v15, v67, v69, v15 op_sel:[0,1,0] op_sel_hi:[1,1,0]
	s_nop 0
	;; [unrolled: 4-line block ×4, first 2 shown]
	v_fma_mixlo_f16 v15, v15, v19, 0 op_sel:[0,1,0] op_sel_hi:[0,1,0]
	v_add_f16_sdwa v87, v14, v15 dst_sel:DWORD dst_unused:UNUSED_PAD src0_sel:WORD_1 src1_sel:DWORD
	s_waitcnt lgkmcnt(0)
	v_fma_mix_f32 v14, v21, v72, 0 op_sel_hi:[1,1,0]
	s_nop 0
	v_fma_mix_f32 v14, v33, v72, v14 op_sel:[0,1,0] op_sel_hi:[1,1,0]
	s_nop 0
	v_fma_mix_f32 v14, v34, v73, v14 op_sel_hi:[1,1,0]
	s_nop 0
	v_fma_mix_f32 v14, v35, v73, v14 op_sel:[0,1,0] op_sel_hi:[1,1,0]
	s_nop 0
	v_fma_mix_f32 v14, v36, v74, v14 op_sel_hi:[1,1,0]
	s_nop 0
	v_fma_mix_f32 v14, v37, v74, v14 op_sel:[0,1,0] op_sel_hi:[1,1,0]
	s_nop 0
	v_fma_mix_f32 v14, v38, v75, v14 op_sel_hi:[1,1,0]
	s_nop 0
	v_fma_mix_f32 v14, v39, v75, v14 op_sel:[0,1,0] op_sel_hi:[1,1,0]
	s_nop 0
	v_fma_mixlo_f16 v14, v14, v18, 0 op_sel_hi:[0,1,0]
	v_add_f16_e32 v68, v55, v14
	v_fma_mix_f32 v14, v40, v72, 0 op_sel_hi:[1,1,0]
	s_nop 0
	v_fma_mix_f32 v14, v41, v72, v14 op_sel:[0,1,0] op_sel_hi:[1,1,0]
	s_nop 0
	v_fma_mix_f32 v14, v42, v73, v14 op_sel_hi:[1,1,0]
	s_nop 0
	v_fma_mix_f32 v14, v43, v73, v14 op_sel:[0,1,0] op_sel_hi:[1,1,0]
	s_nop 0
	v_fma_mix_f32 v14, v44, v74, v14 op_sel_hi:[1,1,0]
	s_nop 0
	v_fma_mix_f32 v14, v45, v74, v14 op_sel:[0,1,0] op_sel_hi:[1,1,0]
	s_nop 0
	v_fma_mix_f32 v14, v46, v75, v14 op_sel_hi:[1,1,0]
	s_nop 0
	v_fma_mix_f32 v14, v47, v75, v14 op_sel:[0,1,0] op_sel_hi:[1,1,0]
	s_nop 0
	v_fma_mixlo_f16 v14, v14, v18, 0 op_sel:[0,1,0] op_sel_hi:[0,1,0]
	v_add_f16_sdwa v69, v55, v14 dst_sel:DWORD dst_unused:UNUSED_PAD src0_sel:WORD_1 src1_sel:DWORD
	v_fma_mix_f32 v14, v48, v72, 0 op_sel_hi:[1,1,0]
	s_nop 0
	v_fma_mix_f32 v14, v49, v72, v14 op_sel:[0,1,0] op_sel_hi:[1,1,0]
	s_nop 0
	v_fma_mix_f32 v14, v50, v73, v14 op_sel_hi:[1,1,0]
	s_nop 0
	v_fma_mix_f32 v14, v51, v73, v14 op_sel:[0,1,0] op_sel_hi:[1,1,0]
	s_nop 0
	v_fma_mix_f32 v14, v52, v74, v14 op_sel_hi:[1,1,0]
	s_nop 0
	v_fma_mix_f32 v14, v53, v74, v14 op_sel:[0,1,0] op_sel_hi:[1,1,0]
	s_nop 0
	v_fma_mix_f32 v14, v62, v75, v14 op_sel_hi:[1,1,0]
	s_nop 0
	v_fma_mix_f32 v14, v63, v75, v14 op_sel:[0,1,0] op_sel_hi:[1,1,0]
	s_nop 0
	v_fma_mixlo_f16 v14, v14, v19, 0 op_sel_hi:[0,1,0]
	v_add_f16_e32 v70, v54, v14
	v_fma_mix_f32 v14, v64, v72, 0 op_sel_hi:[1,1,0]
	s_nop 0
	v_fma_mix_f32 v14, v65, v72, v14 op_sel:[0,1,0] op_sel_hi:[1,1,0]
	s_nop 0
	v_fma_mix_f32 v14, v66, v73, v14 op_sel_hi:[1,1,0]
	s_nop 0
	v_fma_mix_f32 v14, v67, v73, v14 op_sel:[0,1,0] op_sel_hi:[1,1,0]
	s_nop 0
	v_fma_mix_f32 v14, v88, v74, v14 op_sel_hi:[1,1,0]
	s_nop 0
	v_fma_mix_f32 v14, v89, v74, v14 op_sel:[0,1,0] op_sel_hi:[1,1,0]
	s_nop 0
	v_fma_mix_f32 v14, v90, v75, v14 op_sel_hi:[1,1,0]
	s_nop 0
	v_fma_mix_f32 v14, v91, v75, v14 op_sel:[0,1,0] op_sel_hi:[1,1,0]
	s_nop 0
	v_fma_mixlo_f16 v14, v14, v19, 0 op_sel:[0,1,0] op_sel_hi:[0,1,0]
	v_add_f16_sdwa v71, v54, v14 dst_sel:DWORD dst_unused:UNUSED_PAD src0_sel:WORD_1 src1_sel:DWORD
	;; [unrolled: 36-line block ×4, first 2 shown]
	ds_read_b128 v[54:57], v27 offset:768
	s_waitcnt lgkmcnt(0)
	v_fma_mix_f32 v14, v21, v54, 0 op_sel_hi:[1,1,0]
	s_nop 0
	v_fma_mix_f32 v14, v33, v54, v14 op_sel:[0,1,0] op_sel_hi:[1,1,0]
	s_nop 0
	v_fma_mix_f32 v14, v34, v55, v14 op_sel_hi:[1,1,0]
	s_nop 0
	v_fma_mix_f32 v14, v35, v55, v14 op_sel:[0,1,0] op_sel_hi:[1,1,0]
	s_nop 0
	;; [unrolled: 4-line block ×4, first 2 shown]
	v_fma_mixlo_f16 v14, v14, v18, 0 op_sel_hi:[0,1,0]
	v_add_f16_e32 v76, v59, v14
	v_fma_mix_f32 v14, v40, v54, 0 op_sel_hi:[1,1,0]
	s_nop 0
	v_fma_mix_f32 v14, v41, v54, v14 op_sel:[0,1,0] op_sel_hi:[1,1,0]
	s_nop 0
	v_fma_mix_f32 v14, v42, v55, v14 op_sel_hi:[1,1,0]
	s_nop 0
	v_fma_mix_f32 v14, v43, v55, v14 op_sel:[0,1,0] op_sel_hi:[1,1,0]
	s_nop 0
	;; [unrolled: 4-line block ×4, first 2 shown]
	v_fma_mixlo_f16 v14, v14, v18, 0 op_sel:[0,1,0] op_sel_hi:[0,1,0]
	v_add_f16_sdwa v77, v59, v14 dst_sel:DWORD dst_unused:UNUSED_PAD src0_sel:WORD_1 src1_sel:DWORD
	v_fma_mix_f32 v14, v48, v54, 0 op_sel_hi:[1,1,0]
	s_nop 0
	v_fma_mix_f32 v14, v49, v54, v14 op_sel:[0,1,0] op_sel_hi:[1,1,0]
	s_nop 0
	v_fma_mix_f32 v14, v50, v55, v14 op_sel_hi:[1,1,0]
	s_nop 0
	v_fma_mix_f32 v14, v51, v55, v14 op_sel:[0,1,0] op_sel_hi:[1,1,0]
	s_nop 0
	;; [unrolled: 4-line block ×4, first 2 shown]
	v_fma_mixlo_f16 v14, v14, v19, 0 op_sel_hi:[0,1,0]
	v_add_f16_e32 v78, v58, v14
	v_fma_mix_f32 v14, v64, v54, 0 op_sel_hi:[1,1,0]
	s_nop 0
	v_fma_mix_f32 v14, v65, v54, v14 op_sel:[0,1,0] op_sel_hi:[1,1,0]
	s_nop 0
	v_fma_mix_f32 v14, v66, v55, v14 op_sel_hi:[1,1,0]
	s_nop 0
	v_fma_mix_f32 v14, v67, v55, v14 op_sel:[0,1,0] op_sel_hi:[1,1,0]
	s_nop 0
	;; [unrolled: 4-line block ×3, first 2 shown]
	v_fma_mix_f32 v14, v90, v57, v14 op_sel_hi:[1,1,0]
	s_nop 0
	v_fma_mix_f32 v14, v91, v57, v14 op_sel:[0,1,0] op_sel_hi:[1,1,0]
	ds_read_b128 v[54:57], v27 offset:1024
	v_fma_mixlo_f16 v14, v14, v19, 0 op_sel:[0,1,0] op_sel_hi:[0,1,0]
	v_add_f16_sdwa v79, v58, v14 dst_sel:DWORD dst_unused:UNUSED_PAD src0_sel:WORD_1 src1_sel:DWORD
	s_waitcnt lgkmcnt(0)
	v_fma_mix_f32 v14, v21, v54, 0 op_sel_hi:[1,1,0]
	s_nop 0
	v_fma_mix_f32 v14, v33, v54, v14 op_sel:[0,1,0] op_sel_hi:[1,1,0]
	s_nop 0
	v_fma_mix_f32 v14, v34, v55, v14 op_sel_hi:[1,1,0]
	s_nop 0
	v_fma_mix_f32 v14, v35, v55, v14 op_sel:[0,1,0] op_sel_hi:[1,1,0]
	s_nop 0
	;; [unrolled: 4-line block ×4, first 2 shown]
	v_fma_mixlo_f16 v14, v14, v18, 0 op_sel_hi:[0,1,0]
	v_add_f16_e32 v80, v61, v14
	v_fma_mix_f32 v14, v40, v54, 0 op_sel_hi:[1,1,0]
	s_nop 0
	v_fma_mix_f32 v14, v41, v54, v14 op_sel:[0,1,0] op_sel_hi:[1,1,0]
	s_nop 0
	v_fma_mix_f32 v14, v42, v55, v14 op_sel_hi:[1,1,0]
	s_nop 0
	v_fma_mix_f32 v14, v43, v55, v14 op_sel:[0,1,0] op_sel_hi:[1,1,0]
	s_nop 0
	;; [unrolled: 4-line block ×4, first 2 shown]
	v_fma_mixlo_f16 v14, v14, v18, 0 op_sel:[0,1,0] op_sel_hi:[0,1,0]
	v_add_f16_sdwa v81, v61, v14 dst_sel:DWORD dst_unused:UNUSED_PAD src0_sel:WORD_1 src1_sel:DWORD
	v_fma_mix_f32 v14, v48, v54, 0 op_sel_hi:[1,1,0]
	s_nop 0
	v_fma_mix_f32 v14, v49, v54, v14 op_sel:[0,1,0] op_sel_hi:[1,1,0]
	s_nop 0
	v_fma_mix_f32 v14, v50, v55, v14 op_sel_hi:[1,1,0]
	s_nop 0
	v_fma_mix_f32 v14, v51, v55, v14 op_sel:[0,1,0] op_sel_hi:[1,1,0]
	s_nop 0
	;; [unrolled: 4-line block ×4, first 2 shown]
	v_fma_mixlo_f16 v14, v14, v19, 0 op_sel_hi:[0,1,0]
	v_add_f16_e32 v82, v60, v14
	v_fma_mix_f32 v14, v64, v54, 0 op_sel_hi:[1,1,0]
	s_nop 0
	v_fma_mix_f32 v14, v65, v54, v14 op_sel:[0,1,0] op_sel_hi:[1,1,0]
	s_nop 0
	v_fma_mix_f32 v14, v66, v55, v14 op_sel_hi:[1,1,0]
	s_nop 0
	v_fma_mix_f32 v14, v67, v55, v14 op_sel:[0,1,0] op_sel_hi:[1,1,0]
	s_nop 0
	;; [unrolled: 4-line block ×3, first 2 shown]
	v_fma_mix_f32 v14, v90, v57, v14 op_sel_hi:[1,1,0]
	s_nop 0
	v_fma_mix_f32 v14, v91, v57, v14 op_sel:[0,1,0] op_sel_hi:[1,1,0]
	ds_read_b128 v[54:57], v27 offset:1280
	v_fma_mixlo_f16 v14, v14, v19, 0 op_sel:[0,1,0] op_sel_hi:[0,1,0]
	v_add_f16_sdwa v83, v60, v14 dst_sel:DWORD dst_unused:UNUSED_PAD src0_sel:WORD_1 src1_sel:DWORD
	s_waitcnt lgkmcnt(0)
	v_fma_mix_f32 v14, v21, v54, 0 op_sel_hi:[1,1,0]
	s_nop 0
	v_fma_mix_f32 v14, v33, v54, v14 op_sel:[0,1,0] op_sel_hi:[1,1,0]
	v_fma_mix_f32 v15, v64, v54, 0 op_sel_hi:[1,1,0]
	v_fma_mix_f32 v14, v34, v55, v14 op_sel_hi:[1,1,0]
	v_fma_mix_f32 v15, v65, v54, v15 op_sel:[0,1,0] op_sel_hi:[1,1,0]
	v_fma_mix_f32 v14, v35, v55, v14 op_sel:[0,1,0] op_sel_hi:[1,1,0]
	v_fma_mix_f32 v15, v66, v55, v15 op_sel_hi:[1,1,0]
	v_fma_mix_f32 v14, v36, v56, v14 op_sel_hi:[1,1,0]
	v_fma_mix_f32 v15, v67, v55, v15 op_sel:[0,1,0] op_sel_hi:[1,1,0]
	;; [unrolled: 4-line block ×3, first 2 shown]
	v_fma_mix_f32 v14, v39, v57, v14 op_sel:[0,1,0] op_sel_hi:[1,1,0]
	v_fma_mix_f32 v15, v90, v57, v15 op_sel_hi:[1,1,0]
	v_fma_mixlo_f16 v14, v14, v18, 0 op_sel_hi:[0,1,0]
	v_add_f16_e32 v21, v20, v14
	v_fma_mix_f32 v14, v40, v54, 0 op_sel_hi:[1,1,0]
	v_fma_mix_f32 v15, v91, v57, v15 op_sel:[0,1,0] op_sel_hi:[1,1,0]
	v_fma_mix_f32 v14, v41, v54, v14 op_sel:[0,1,0] op_sel_hi:[1,1,0]
	v_fma_mixlo_f16 v15, v15, v19, 0 op_sel:[0,1,0] op_sel_hi:[0,1,0]
	v_fma_mix_f32 v14, v42, v55, v14 op_sel_hi:[1,1,0]
	v_add_f16_sdwa v15, v32, v15 dst_sel:DWORD dst_unused:UNUSED_PAD src0_sel:WORD_1 src1_sel:DWORD
	v_fma_mix_f32 v14, v43, v55, v14 op_sel:[0,1,0] op_sel_hi:[1,1,0]
	s_nop 0
	v_fma_mix_f32 v14, v44, v56, v14 op_sel_hi:[1,1,0]
	s_nop 0
	v_fma_mix_f32 v14, v45, v56, v14 op_sel:[0,1,0] op_sel_hi:[1,1,0]
	s_nop 0
	v_fma_mix_f32 v14, v46, v57, v14 op_sel_hi:[1,1,0]
	s_nop 0
	v_fma_mix_f32 v14, v47, v57, v14 op_sel:[0,1,0] op_sel_hi:[1,1,0]
	s_nop 0
	v_fma_mixlo_f16 v14, v14, v18, 0 op_sel:[0,1,0] op_sel_hi:[0,1,0]
	v_add_f16_sdwa v20, v20, v14 dst_sel:DWORD dst_unused:UNUSED_PAD src0_sel:WORD_1 src1_sel:DWORD
	v_fma_mix_f32 v14, v48, v54, 0 op_sel_hi:[1,1,0]
	s_nop 0
	v_fma_mix_f32 v14, v49, v54, v14 op_sel:[0,1,0] op_sel_hi:[1,1,0]
	s_nop 0
	v_fma_mix_f32 v14, v50, v55, v14 op_sel_hi:[1,1,0]
	s_nop 0
	v_fma_mix_f32 v14, v51, v55, v14 op_sel:[0,1,0] op_sel_hi:[1,1,0]
	s_nop 0
	;; [unrolled: 4-line block ×4, first 2 shown]
	v_fma_mixlo_f16 v14, v14, v19, 0 op_sel_hi:[0,1,0]
	v_add_f16_e32 v14, v32, v14
	global_load_dwordx4 v[32:35], v[12:13], off
	v_lshl_add_u64 v[12:13], v[12:13], 0, s[0:1]
	global_load_dwordx4 v[64:67], v[12:13], off
	s_waitcnt vmcnt(1)
	v_sub_u32_sdwa v36, v32, v31 dst_sel:DWORD dst_unused:UNUSED_PAD src0_sel:BYTE_0 src1_sel:DWORD
	v_sub_u32_sdwa v37, v32, v31 dst_sel:DWORD dst_unused:UNUSED_PAD src0_sel:BYTE_1 src1_sel:DWORD
	v_sub_u32_sdwa v38, v32, v31 dst_sel:DWORD dst_unused:UNUSED_PAD src0_sel:BYTE_2 src1_sel:DWORD
	v_sub_u32_sdwa v32, v32, v31 dst_sel:DWORD dst_unused:UNUSED_PAD src0_sel:BYTE_3 src1_sel:DWORD
	v_cvt_f32_i32_e32 v32, v32
	v_cvt_f32_i32_e32 v36, v36
	;; [unrolled: 1-line block ×4, first 2 shown]
	v_cvt_f16_f32_e32 v39, v32
	s_waitcnt vmcnt(0)
	v_sub_u32_sdwa v32, v64, v31 dst_sel:DWORD dst_unused:UNUSED_PAD src0_sel:BYTE_0 src1_sel:DWORD
	v_cvt_f32_i32_e32 v32, v32
	v_cvt_f16_f32_e32 v36, v36
	v_cvt_f16_f32_e32 v37, v37
	;; [unrolled: 1-line block ×4, first 2 shown]
	v_sub_u32_sdwa v32, v64, v31 dst_sel:DWORD dst_unused:UNUSED_PAD src0_sel:BYTE_1 src1_sel:DWORD
	v_cvt_f32_i32_e32 v32, v32
	v_cvt_f16_f32_e32 v42, v32
	v_sub_u32_sdwa v32, v64, v31 dst_sel:DWORD dst_unused:UNUSED_PAD src0_sel:BYTE_2 src1_sel:DWORD
	v_cvt_f32_i32_e32 v32, v32
	v_cvt_f16_f32_e32 v44, v32
	v_sub_u32_sdwa v32, v64, v31 dst_sel:DWORD dst_unused:UNUSED_PAD src0_sel:BYTE_3 src1_sel:DWORD
	v_cvt_f32_i32_e32 v32, v32
	v_cvt_f16_f32_e32 v46, v32
	v_sub_u32_sdwa v32, v33, v30 dst_sel:DWORD dst_unused:UNUSED_PAD src0_sel:BYTE_0 src1_sel:DWORD
	v_cvt_f32_i32_e32 v32, v32
	v_cvt_f16_f32_e32 v41, v32
	v_sub_u32_sdwa v32, v33, v30 dst_sel:DWORD dst_unused:UNUSED_PAD src0_sel:BYTE_1 src1_sel:DWORD
	v_cvt_f32_i32_e32 v32, v32
	v_cvt_f16_f32_e32 v43, v32
	v_sub_u32_sdwa v32, v33, v30 dst_sel:DWORD dst_unused:UNUSED_PAD src0_sel:BYTE_2 src1_sel:DWORD
	v_cvt_f32_i32_e32 v32, v32
	v_cvt_f16_f32_e32 v45, v32
	v_sub_u32_sdwa v32, v33, v30 dst_sel:DWORD dst_unused:UNUSED_PAD src0_sel:BYTE_3 src1_sel:DWORD
	v_cvt_f32_i32_e32 v32, v32
	v_cvt_f16_f32_e32 v47, v32
	v_sub_u32_sdwa v32, v65, v30 dst_sel:DWORD dst_unused:UNUSED_PAD src0_sel:BYTE_0 src1_sel:DWORD
	v_cvt_f32_i32_e32 v32, v32
	v_cvt_f16_f32_e32 v48, v32
	;; [unrolled: 12-line block ×6, first 2 shown]
	v_sub_u32_sdwa v32, v67, v28 dst_sel:DWORD dst_unused:UNUSED_PAD src0_sel:BYTE_1 src1_sel:DWORD
	v_cvt_f32_i32_e32 v32, v32
	v_cvt_f16_f32_e32 v65, v32
	v_sub_u32_sdwa v32, v67, v28 dst_sel:DWORD dst_unused:UNUSED_PAD src0_sel:BYTE_2 src1_sel:DWORD
	v_cvt_f32_i32_e32 v32, v32
	v_cvt_f16_f32_e32 v66, v32
	v_sub_u32_sdwa v32, v67, v28 dst_sel:DWORD dst_unused:UNUSED_PAD src0_sel:BYTE_3 src1_sel:DWORD
	v_cvt_f32_i32_e32 v32, v32
	v_cvt_f16_f32_e32 v67, v32
	v_fma_mix_f32 v32, v36, v8, 0 op_sel_hi:[1,1,0]
	s_nop 0
	v_fma_mix_f32 v32, v37, v8, v32 op_sel:[0,1,0] op_sel_hi:[1,1,0]
	s_nop 0
	v_fma_mix_f32 v32, v38, v9, v32 op_sel_hi:[1,1,0]
	s_nop 0
	v_fma_mix_f32 v32, v39, v9, v32 op_sel:[0,1,0] op_sel_hi:[1,1,0]
	s_nop 0
	v_fma_mix_f32 v32, v40, v10, v32 op_sel_hi:[1,1,0]
	s_nop 0
	v_fma_mix_f32 v32, v42, v10, v32 op_sel:[0,1,0] op_sel_hi:[1,1,0]
	s_nop 0
	v_fma_mix_f32 v32, v44, v11, v32 op_sel_hi:[1,1,0]
	s_nop 0
	v_fma_mix_f32 v32, v46, v11, v32 op_sel:[0,1,0] op_sel_hi:[1,1,0]
	s_nop 0
	v_fma_mixlo_f16 v32, v32, v18, 0 op_sel_hi:[0,1,0]
	v_add_f16_e32 v35, v84, v32
	v_fma_mix_f32 v32, v41, v8, 0 op_sel_hi:[1,1,0]
	s_nop 0
	v_fma_mix_f32 v32, v43, v8, v32 op_sel:[0,1,0] op_sel_hi:[1,1,0]
	s_nop 0
	v_fma_mix_f32 v32, v45, v9, v32 op_sel_hi:[1,1,0]
	s_nop 0
	v_fma_mix_f32 v32, v47, v9, v32 op_sel:[0,1,0] op_sel_hi:[1,1,0]
	s_nop 0
	;; [unrolled: 4-line block ×4, first 2 shown]
	v_fma_mixlo_f16 v32, v32, v18, 0 op_sel:[0,1,0] op_sel_hi:[0,1,0]
	v_add_f16_e32 v34, v85, v32
	v_fma_mix_f32 v32, v49, v8, 0 op_sel_hi:[1,1,0]
	s_nop 0
	v_fma_mix_f32 v32, v51, v8, v32 op_sel:[0,1,0] op_sel_hi:[1,1,0]
	s_nop 0
	v_fma_mix_f32 v32, v53, v9, v32 op_sel_hi:[1,1,0]
	s_nop 0
	v_fma_mix_f32 v32, v55, v9, v32 op_sel:[0,1,0] op_sel_hi:[1,1,0]
	s_nop 0
	v_fma_mix_f32 v32, v56, v10, v32 op_sel_hi:[1,1,0]
	s_nop 0
	v_fma_mix_f32 v32, v57, v10, v32 op_sel:[0,1,0] op_sel_hi:[1,1,0]
	s_nop 0
	v_fma_mix_f32 v32, v58, v11, v32 op_sel_hi:[1,1,0]
	s_nop 0
	v_fma_mix_f32 v32, v59, v11, v32 op_sel:[0,1,0] op_sel_hi:[1,1,0]
	s_nop 0
	v_fma_mixlo_f16 v32, v32, v19, 0 op_sel_hi:[0,1,0]
	v_add_f16_e32 v33, v86, v32
	v_fma_mix_f32 v32, v60, v8, 0 op_sel_hi:[1,1,0]
	s_nop 0
	v_fma_mix_f32 v8, v61, v8, v32 op_sel:[0,1,0] op_sel_hi:[1,1,0]
	s_nop 0
	v_fma_mix_f32 v8, v62, v9, v8 op_sel_hi:[1,1,0]
	s_nop 0
	v_fma_mix_f32 v8, v63, v9, v8 op_sel:[0,1,0] op_sel_hi:[1,1,0]
	s_nop 0
	;; [unrolled: 4-line block ×4, first 2 shown]
	v_fma_mixlo_f16 v8, v8, v19, 0 op_sel:[0,1,0] op_sel_hi:[0,1,0]
	v_add_f16_e32 v32, v87, v8
	ds_read_b128 v[8:11], v27 offset:272
	s_waitcnt lgkmcnt(0)
	v_fma_mix_f32 v84, v36, v8, 0 op_sel_hi:[1,1,0]
	s_nop 0
	v_fma_mix_f32 v84, v37, v8, v84 op_sel:[0,1,0] op_sel_hi:[1,1,0]
	s_nop 0
	v_fma_mix_f32 v84, v38, v9, v84 op_sel_hi:[1,1,0]
	s_nop 0
	v_fma_mix_f32 v84, v39, v9, v84 op_sel:[0,1,0] op_sel_hi:[1,1,0]
	s_nop 0
	v_fma_mix_f32 v84, v40, v10, v84 op_sel_hi:[1,1,0]
	s_nop 0
	v_fma_mix_f32 v84, v42, v10, v84 op_sel:[0,1,0] op_sel_hi:[1,1,0]
	s_nop 0
	v_fma_mix_f32 v84, v44, v11, v84 op_sel_hi:[1,1,0]
	s_nop 0
	v_fma_mix_f32 v84, v46, v11, v84 op_sel:[0,1,0] op_sel_hi:[1,1,0]
	s_nop 0
	v_fma_mixlo_f16 v84, v84, v18, 0 op_sel_hi:[0,1,0]
	v_add_f16_e32 v68, v68, v84
	v_fma_mix_f32 v84, v41, v8, 0 op_sel_hi:[1,1,0]
	s_nop 0
	v_fma_mix_f32 v84, v43, v8, v84 op_sel:[0,1,0] op_sel_hi:[1,1,0]
	s_nop 0
	v_fma_mix_f32 v84, v45, v9, v84 op_sel_hi:[1,1,0]
	s_nop 0
	v_fma_mix_f32 v84, v47, v9, v84 op_sel:[0,1,0] op_sel_hi:[1,1,0]
	s_nop 0
	;; [unrolled: 4-line block ×4, first 2 shown]
	v_fma_mixlo_f16 v84, v84, v18, 0 op_sel:[0,1,0] op_sel_hi:[0,1,0]
	v_add_f16_e32 v69, v69, v84
	v_fma_mix_f32 v84, v49, v8, 0 op_sel_hi:[1,1,0]
	s_nop 0
	v_fma_mix_f32 v84, v51, v8, v84 op_sel:[0,1,0] op_sel_hi:[1,1,0]
	s_nop 0
	v_fma_mix_f32 v84, v53, v9, v84 op_sel_hi:[1,1,0]
	s_nop 0
	v_fma_mix_f32 v84, v55, v9, v84 op_sel:[0,1,0] op_sel_hi:[1,1,0]
	s_nop 0
	;; [unrolled: 4-line block ×4, first 2 shown]
	v_fma_mixlo_f16 v84, v84, v19, 0 op_sel_hi:[0,1,0]
	v_add_f16_e32 v70, v70, v84
	v_fma_mix_f32 v84, v60, v8, 0 op_sel_hi:[1,1,0]
	s_nop 0
	v_fma_mix_f32 v8, v61, v8, v84 op_sel:[0,1,0] op_sel_hi:[1,1,0]
	s_nop 0
	v_fma_mix_f32 v8, v62, v9, v8 op_sel_hi:[1,1,0]
	s_nop 0
	v_fma_mix_f32 v8, v63, v9, v8 op_sel:[0,1,0] op_sel_hi:[1,1,0]
	s_nop 0
	;; [unrolled: 4-line block ×4, first 2 shown]
	v_fma_mixlo_f16 v8, v8, v19, 0 op_sel:[0,1,0] op_sel_hi:[0,1,0]
	v_add_f16_e32 v71, v71, v8
	ds_read_b128 v[8:11], v27 offset:528
	s_waitcnt lgkmcnt(0)
	v_fma_mix_f32 v84, v36, v8, 0 op_sel_hi:[1,1,0]
	s_nop 0
	v_fma_mix_f32 v84, v37, v8, v84 op_sel:[0,1,0] op_sel_hi:[1,1,0]
	s_nop 0
	v_fma_mix_f32 v84, v38, v9, v84 op_sel_hi:[1,1,0]
	s_nop 0
	v_fma_mix_f32 v84, v39, v9, v84 op_sel:[0,1,0] op_sel_hi:[1,1,0]
	s_nop 0
	;; [unrolled: 4-line block ×4, first 2 shown]
	v_fma_mixlo_f16 v84, v84, v18, 0 op_sel_hi:[0,1,0]
	v_add_f16_e32 v72, v72, v84
	v_fma_mix_f32 v84, v41, v8, 0 op_sel_hi:[1,1,0]
	s_nop 0
	v_fma_mix_f32 v84, v43, v8, v84 op_sel:[0,1,0] op_sel_hi:[1,1,0]
	s_nop 0
	v_fma_mix_f32 v84, v45, v9, v84 op_sel_hi:[1,1,0]
	s_nop 0
	v_fma_mix_f32 v84, v47, v9, v84 op_sel:[0,1,0] op_sel_hi:[1,1,0]
	s_nop 0
	;; [unrolled: 4-line block ×4, first 2 shown]
	v_fma_mixlo_f16 v84, v84, v18, 0 op_sel:[0,1,0] op_sel_hi:[0,1,0]
	v_add_f16_e32 v73, v73, v84
	v_fma_mix_f32 v84, v49, v8, 0 op_sel_hi:[1,1,0]
	s_nop 0
	v_fma_mix_f32 v84, v51, v8, v84 op_sel:[0,1,0] op_sel_hi:[1,1,0]
	s_nop 0
	v_fma_mix_f32 v84, v53, v9, v84 op_sel_hi:[1,1,0]
	s_nop 0
	v_fma_mix_f32 v84, v55, v9, v84 op_sel:[0,1,0] op_sel_hi:[1,1,0]
	s_nop 0
	;; [unrolled: 4-line block ×4, first 2 shown]
	v_fma_mixlo_f16 v84, v84, v19, 0 op_sel_hi:[0,1,0]
	v_add_f16_e32 v74, v74, v84
	v_fma_mix_f32 v84, v60, v8, 0 op_sel_hi:[1,1,0]
	s_nop 0
	v_fma_mix_f32 v8, v61, v8, v84 op_sel:[0,1,0] op_sel_hi:[1,1,0]
	s_nop 0
	v_fma_mix_f32 v8, v62, v9, v8 op_sel_hi:[1,1,0]
	s_nop 0
	v_fma_mix_f32 v8, v63, v9, v8 op_sel:[0,1,0] op_sel_hi:[1,1,0]
	s_nop 0
	;; [unrolled: 4-line block ×4, first 2 shown]
	v_fma_mixlo_f16 v8, v8, v19, 0 op_sel:[0,1,0] op_sel_hi:[0,1,0]
	v_add_f16_e32 v75, v75, v8
	ds_read_b128 v[8:11], v27 offset:784
	s_waitcnt lgkmcnt(0)
	v_fma_mix_f32 v84, v36, v8, 0 op_sel_hi:[1,1,0]
	s_nop 0
	v_fma_mix_f32 v84, v37, v8, v84 op_sel:[0,1,0] op_sel_hi:[1,1,0]
	s_nop 0
	v_fma_mix_f32 v84, v38, v9, v84 op_sel_hi:[1,1,0]
	s_nop 0
	v_fma_mix_f32 v84, v39, v9, v84 op_sel:[0,1,0] op_sel_hi:[1,1,0]
	s_nop 0
	;; [unrolled: 4-line block ×4, first 2 shown]
	v_fma_mixlo_f16 v84, v84, v18, 0 op_sel_hi:[0,1,0]
	v_add_f16_e32 v76, v76, v84
	v_fma_mix_f32 v84, v41, v8, 0 op_sel_hi:[1,1,0]
	s_nop 0
	v_fma_mix_f32 v84, v43, v8, v84 op_sel:[0,1,0] op_sel_hi:[1,1,0]
	s_nop 0
	v_fma_mix_f32 v84, v45, v9, v84 op_sel_hi:[1,1,0]
	s_nop 0
	v_fma_mix_f32 v84, v47, v9, v84 op_sel:[0,1,0] op_sel_hi:[1,1,0]
	s_nop 0
	;; [unrolled: 4-line block ×4, first 2 shown]
	v_fma_mixlo_f16 v84, v84, v18, 0 op_sel:[0,1,0] op_sel_hi:[0,1,0]
	v_add_f16_e32 v77, v77, v84
	v_fma_mix_f32 v84, v49, v8, 0 op_sel_hi:[1,1,0]
	s_nop 0
	v_fma_mix_f32 v84, v51, v8, v84 op_sel:[0,1,0] op_sel_hi:[1,1,0]
	s_nop 0
	v_fma_mix_f32 v84, v53, v9, v84 op_sel_hi:[1,1,0]
	s_nop 0
	v_fma_mix_f32 v84, v55, v9, v84 op_sel:[0,1,0] op_sel_hi:[1,1,0]
	s_nop 0
	;; [unrolled: 4-line block ×4, first 2 shown]
	v_fma_mixlo_f16 v84, v84, v19, 0 op_sel_hi:[0,1,0]
	v_add_f16_e32 v78, v78, v84
	v_fma_mix_f32 v84, v60, v8, 0 op_sel_hi:[1,1,0]
	s_nop 0
	v_fma_mix_f32 v8, v61, v8, v84 op_sel:[0,1,0] op_sel_hi:[1,1,0]
	s_nop 0
	v_fma_mix_f32 v8, v62, v9, v8 op_sel_hi:[1,1,0]
	s_nop 0
	v_fma_mix_f32 v8, v63, v9, v8 op_sel:[0,1,0] op_sel_hi:[1,1,0]
	s_nop 0
	v_fma_mix_f32 v8, v64, v10, v8 op_sel_hi:[1,1,0]
	s_nop 0
	v_fma_mix_f32 v8, v65, v10, v8 op_sel:[0,1,0] op_sel_hi:[1,1,0]
	s_nop 0
	v_fma_mix_f32 v8, v66, v11, v8 op_sel_hi:[1,1,0]
	s_nop 0
	v_fma_mix_f32 v8, v67, v11, v8 op_sel:[0,1,0] op_sel_hi:[1,1,0]
	s_nop 0
	v_fma_mixlo_f16 v8, v8, v19, 0 op_sel:[0,1,0] op_sel_hi:[0,1,0]
	v_add_f16_e32 v79, v79, v8
	ds_read_b128 v[8:11], v27 offset:1040
	s_waitcnt lgkmcnt(0)
	v_fma_mix_f32 v84, v36, v8, 0 op_sel_hi:[1,1,0]
	s_nop 0
	v_fma_mix_f32 v84, v37, v8, v84 op_sel:[0,1,0] op_sel_hi:[1,1,0]
	s_nop 0
	v_fma_mix_f32 v84, v38, v9, v84 op_sel_hi:[1,1,0]
	s_nop 0
	v_fma_mix_f32 v84, v39, v9, v84 op_sel:[0,1,0] op_sel_hi:[1,1,0]
	s_nop 0
	;; [unrolled: 4-line block ×4, first 2 shown]
	v_fma_mixlo_f16 v84, v84, v18, 0 op_sel_hi:[0,1,0]
	v_add_f16_e32 v80, v80, v84
	v_fma_mix_f32 v84, v41, v8, 0 op_sel_hi:[1,1,0]
	s_nop 0
	v_fma_mix_f32 v84, v43, v8, v84 op_sel:[0,1,0] op_sel_hi:[1,1,0]
	s_nop 0
	v_fma_mix_f32 v84, v45, v9, v84 op_sel_hi:[1,1,0]
	s_nop 0
	v_fma_mix_f32 v84, v47, v9, v84 op_sel:[0,1,0] op_sel_hi:[1,1,0]
	s_nop 0
	;; [unrolled: 4-line block ×4, first 2 shown]
	v_fma_mixlo_f16 v84, v84, v18, 0 op_sel:[0,1,0] op_sel_hi:[0,1,0]
	v_add_f16_e32 v81, v81, v84
	v_fma_mix_f32 v84, v49, v8, 0 op_sel_hi:[1,1,0]
	s_nop 0
	v_fma_mix_f32 v84, v51, v8, v84 op_sel:[0,1,0] op_sel_hi:[1,1,0]
	s_nop 0
	v_fma_mix_f32 v84, v53, v9, v84 op_sel_hi:[1,1,0]
	s_nop 0
	v_fma_mix_f32 v84, v55, v9, v84 op_sel:[0,1,0] op_sel_hi:[1,1,0]
	s_nop 0
	v_fma_mix_f32 v84, v56, v10, v84 op_sel_hi:[1,1,0]
	s_nop 0
	v_fma_mix_f32 v84, v57, v10, v84 op_sel:[0,1,0] op_sel_hi:[1,1,0]
	s_nop 0
	v_fma_mix_f32 v84, v58, v11, v84 op_sel_hi:[1,1,0]
	s_nop 0
	v_fma_mix_f32 v84, v59, v11, v84 op_sel:[0,1,0] op_sel_hi:[1,1,0]
	s_nop 0
	v_fma_mixlo_f16 v84, v84, v19, 0 op_sel_hi:[0,1,0]
	v_add_f16_e32 v82, v82, v84
	v_fma_mix_f32 v84, v60, v8, 0 op_sel_hi:[1,1,0]
	s_nop 0
	v_fma_mix_f32 v8, v61, v8, v84 op_sel:[0,1,0] op_sel_hi:[1,1,0]
	s_nop 0
	v_fma_mix_f32 v8, v62, v9, v8 op_sel_hi:[1,1,0]
	s_nop 0
	v_fma_mix_f32 v8, v63, v9, v8 op_sel:[0,1,0] op_sel_hi:[1,1,0]
	s_nop 0
	;; [unrolled: 4-line block ×4, first 2 shown]
	v_fma_mixlo_f16 v8, v8, v19, 0 op_sel:[0,1,0] op_sel_hi:[0,1,0]
	v_add_f16_e32 v83, v83, v8
	ds_read_b128 v[8:11], v27 offset:1296
	s_waitcnt lgkmcnt(0)
	v_fma_mix_f32 v36, v36, v8, 0 op_sel_hi:[1,1,0]
	s_nop 0
	v_fma_mix_f32 v36, v37, v8, v36 op_sel:[0,1,0] op_sel_hi:[1,1,0]
	s_nop 0
	v_fma_mix_f32 v36, v38, v9, v36 op_sel_hi:[1,1,0]
	s_nop 0
	v_fma_mix_f32 v36, v39, v9, v36 op_sel:[0,1,0] op_sel_hi:[1,1,0]
	s_nop 0
	;; [unrolled: 4-line block ×4, first 2 shown]
	v_fma_mixlo_f16 v36, v36, v18, 0 op_sel_hi:[0,1,0]
	v_add_f16_e32 v36, v21, v36
	v_fma_mix_f32 v21, v41, v8, 0 op_sel_hi:[1,1,0]
	s_nop 0
	v_fma_mix_f32 v21, v43, v8, v21 op_sel:[0,1,0] op_sel_hi:[1,1,0]
	s_nop 0
	v_fma_mix_f32 v21, v45, v9, v21 op_sel_hi:[1,1,0]
	s_nop 0
	v_fma_mix_f32 v21, v47, v9, v21 op_sel:[0,1,0] op_sel_hi:[1,1,0]
	s_nop 0
	;; [unrolled: 4-line block ×4, first 2 shown]
	v_fma_mixlo_f16 v21, v21, v18, 0 op_sel:[0,1,0] op_sel_hi:[0,1,0]
	v_add_f16_e32 v37, v20, v21
	v_fma_mix_f32 v20, v49, v8, 0 op_sel_hi:[1,1,0]
	s_nop 0
	v_fma_mix_f32 v20, v51, v8, v20 op_sel:[0,1,0] op_sel_hi:[1,1,0]
	s_nop 0
	v_fma_mix_f32 v20, v53, v9, v20 op_sel_hi:[1,1,0]
	s_nop 0
	v_fma_mix_f32 v20, v55, v9, v20 op_sel:[0,1,0] op_sel_hi:[1,1,0]
	s_nop 0
	;; [unrolled: 4-line block ×4, first 2 shown]
	v_fma_mixlo_f16 v20, v20, v19, 0 op_sel_hi:[0,1,0]
	v_add_f16_e32 v38, v14, v20
	v_fma_mix_f32 v14, v60, v8, 0 op_sel_hi:[1,1,0]
	s_nop 0
	v_fma_mix_f32 v8, v61, v8, v14 op_sel:[0,1,0] op_sel_hi:[1,1,0]
	s_nop 0
	v_fma_mix_f32 v8, v62, v9, v8 op_sel_hi:[1,1,0]
	s_nop 0
	v_fma_mix_f32 v8, v63, v9, v8 op_sel:[0,1,0] op_sel_hi:[1,1,0]
	s_nop 0
	;; [unrolled: 4-line block ×4, first 2 shown]
	v_fma_mixlo_f16 v8, v8, v19, 0 op_sel:[0,1,0] op_sel_hi:[0,1,0]
	v_add_f16_e32 v39, v15, v8
	v_lshl_add_u64 v[8:9], v[12:13], 0, s[0:1]
	global_load_dwordx4 v[12:15], v[8:9], off
	v_lshl_add_u64 v[20:21], v[8:9], 0, s[0:1]
	global_load_dwordx4 v[8:11], v[20:21], off
	s_waitcnt vmcnt(1)
	v_sub_u32_sdwa v54, v14, v29 dst_sel:DWORD dst_unused:UNUSED_PAD src0_sel:BYTE_2 src1_sel:DWORD
	v_cvt_f32_i32_e32 v54, v54
	v_sub_u32_sdwa v40, v12, v31 dst_sel:DWORD dst_unused:UNUSED_PAD src0_sel:BYTE_0 src1_sel:DWORD
	v_cvt_f32_i32_e32 v40, v40
	v_sub_u32_sdwa v41, v12, v31 dst_sel:DWORD dst_unused:UNUSED_PAD src0_sel:BYTE_1 src1_sel:DWORD
	v_cvt_f16_f32_e32 v84, v54
	s_waitcnt vmcnt(0)
	v_sub_u32_sdwa v54, v10, v29 dst_sel:DWORD dst_unused:UNUSED_PAD src0_sel:BYTE_0 src1_sel:DWORD
	v_cvt_f32_i32_e32 v54, v54
	v_cvt_f32_i32_e32 v41, v41
	v_sub_u32_sdwa v42, v12, v31 dst_sel:DWORD dst_unused:UNUSED_PAD src0_sel:BYTE_2 src1_sel:DWORD
	v_cvt_f32_i32_e32 v42, v42
	v_cvt_f16_f32_e32 v85, v54
	v_sub_u32_sdwa v54, v10, v29 dst_sel:DWORD dst_unused:UNUSED_PAD src0_sel:BYTE_1 src1_sel:DWORD
	v_cvt_f32_i32_e32 v54, v54
	v_sub_u32_sdwa v12, v12, v31 dst_sel:DWORD dst_unused:UNUSED_PAD src0_sel:BYTE_3 src1_sel:DWORD
	v_cvt_f32_i32_e32 v12, v12
	v_sub_u32_sdwa v43, v8, v31 dst_sel:DWORD dst_unused:UNUSED_PAD src0_sel:BYTE_0 src1_sel:DWORD
	v_cvt_f16_f32_e32 v86, v54
	v_sub_u32_sdwa v54, v10, v29 dst_sel:DWORD dst_unused:UNUSED_PAD src0_sel:BYTE_2 src1_sel:DWORD
	v_cvt_f32_i32_e32 v54, v54
	v_cvt_f16_f32_e32 v40, v40
	v_cvt_f32_i32_e32 v43, v43
	v_sub_u32_sdwa v44, v8, v31 dst_sel:DWORD dst_unused:UNUSED_PAD src0_sel:BYTE_1 src1_sel:DWORD
	v_cvt_f16_f32_e32 v87, v54
	v_sub_u32_sdwa v54, v15, v28 dst_sel:DWORD dst_unused:UNUSED_PAD src0_sel:BYTE_0 src1_sel:DWORD
	v_cvt_f32_i32_e32 v54, v54
	v_cvt_f16_f32_e32 v41, v41
	v_cvt_f32_i32_e32 v44, v44
	v_sub_u32_sdwa v45, v8, v31 dst_sel:DWORD dst_unused:UNUSED_PAD src0_sel:BYTE_2 src1_sel:DWORD
	v_cvt_f16_f32_e32 v88, v54
	v_sub_u32_sdwa v54, v15, v28 dst_sel:DWORD dst_unused:UNUSED_PAD src0_sel:BYTE_1 src1_sel:DWORD
	v_cvt_f32_i32_e32 v54, v54
	v_cvt_f16_f32_e32 v42, v42
	v_cvt_f32_i32_e32 v45, v45
	v_sub_u32_sdwa v8, v8, v31 dst_sel:DWORD dst_unused:UNUSED_PAD src0_sel:BYTE_3 src1_sel:DWORD
	v_cvt_f16_f32_e32 v89, v54
	v_sub_u32_sdwa v54, v15, v28 dst_sel:DWORD dst_unused:UNUSED_PAD src0_sel:BYTE_2 src1_sel:DWORD
	v_cvt_f32_i32_e32 v54, v54
	v_cvt_f16_f32_e32 v12, v12
	v_cvt_f32_i32_e32 v8, v8
	v_cvt_f16_f32_e32 v43, v43
	v_cvt_f16_f32_e32 v90, v54
	v_sub_u32_sdwa v54, v11, v28 dst_sel:DWORD dst_unused:UNUSED_PAD src0_sel:BYTE_0 src1_sel:DWORD
	v_cvt_f32_i32_e32 v54, v54
	v_sub_u32_sdwa v46, v13, v30 dst_sel:DWORD dst_unused:UNUSED_PAD src0_sel:BYTE_0 src1_sel:DWORD
	v_cvt_f16_f32_e32 v44, v44
	v_cvt_f32_i32_e32 v46, v46
	v_cvt_f16_f32_e32 v91, v54
	v_sub_u32_sdwa v54, v11, v28 dst_sel:DWORD dst_unused:UNUSED_PAD src0_sel:BYTE_1 src1_sel:DWORD
	v_cvt_f32_i32_e32 v54, v54
	v_sub_u32_sdwa v47, v13, v30 dst_sel:DWORD dst_unused:UNUSED_PAD src0_sel:BYTE_1 src1_sel:DWORD
	v_cvt_f16_f32_e32 v45, v45
	v_cvt_f32_i32_e32 v47, v47
	v_cvt_f16_f32_e32 v92, v54
	v_sub_u32_sdwa v54, v11, v28 dst_sel:DWORD dst_unused:UNUSED_PAD src0_sel:BYTE_2 src1_sel:DWORD
	v_cvt_f32_i32_e32 v54, v54
	v_sub_u32_sdwa v48, v13, v30 dst_sel:DWORD dst_unused:UNUSED_PAD src0_sel:BYTE_2 src1_sel:DWORD
	v_cvt_f16_f32_e32 v8, v8
	v_cvt_f32_i32_e32 v48, v48
	v_cvt_f16_f32_e32 v93, v54
	v_fma_mix_f32 v54, v40, v4, 0 op_sel_hi:[1,1,0]
	v_sub_u32_sdwa v13, v13, v30 dst_sel:DWORD dst_unused:UNUSED_PAD src0_sel:BYTE_3 src1_sel:DWORD
	v_fma_mix_f32 v54, v41, v4, v54 op_sel:[0,1,0] op_sel_hi:[1,1,0]
	v_cvt_f32_i32_e32 v13, v13
	v_fma_mix_f32 v54, v42, v5, v54 op_sel_hi:[1,1,0]
	v_sub_u32_sdwa v49, v9, v30 dst_sel:DWORD dst_unused:UNUSED_PAD src0_sel:BYTE_0 src1_sel:DWORD
	v_fma_mix_f32 v54, v12, v5, v54 op_sel:[0,1,0] op_sel_hi:[1,1,0]
	v_cvt_f16_f32_e32 v46, v46
	v_fma_mix_f32 v54, v43, v6, v54 op_sel_hi:[1,1,0]
	v_cvt_f32_i32_e32 v49, v49
	v_sub_u32_sdwa v50, v9, v30 dst_sel:DWORD dst_unused:UNUSED_PAD src0_sel:BYTE_1 src1_sel:DWORD
	v_fma_mix_f32 v54, v44, v6, v54 op_sel:[0,1,0] op_sel_hi:[1,1,0]
	v_cvt_f16_f32_e32 v47, v47
	v_cvt_f32_i32_e32 v50, v50
	v_sub_u32_sdwa v51, v9, v30 dst_sel:DWORD dst_unused:UNUSED_PAD src0_sel:BYTE_2 src1_sel:DWORD
	v_fma_mix_f32 v54, v45, v7, v54 op_sel_hi:[1,1,0]
	v_cvt_f16_f32_e32 v48, v48
	v_cvt_f32_i32_e32 v51, v51
	v_sub_u32_sdwa v9, v9, v30 dst_sel:DWORD dst_unused:UNUSED_PAD src0_sel:BYTE_3 src1_sel:DWORD
	v_fma_mix_f32 v54, v8, v7, v54 op_sel:[0,1,0] op_sel_hi:[1,1,0]
	v_cvt_f16_f32_e32 v13, v13
	v_cvt_f32_i32_e32 v9, v9
	v_fma_mixlo_f16 v54, v54, v18, 0 op_sel_hi:[0,1,0]
	v_cvt_f16_f32_e32 v49, v49
	v_sub_u32_sdwa v52, v14, v29 dst_sel:DWORD dst_unused:UNUSED_PAD src0_sel:BYTE_0 src1_sel:DWORD
	v_add_f16_e32 v94, v35, v54
	v_fma_mix_f32 v35, v46, v4, 0 op_sel_hi:[1,1,0]
	v_cvt_f16_f32_e32 v50, v50
	v_cvt_f32_i32_e32 v52, v52
	v_sub_u32_sdwa v53, v14, v29 dst_sel:DWORD dst_unused:UNUSED_PAD src0_sel:BYTE_1 src1_sel:DWORD
	v_fma_mix_f32 v35, v47, v4, v35 op_sel:[0,1,0] op_sel_hi:[1,1,0]
	v_cvt_f16_f32_e32 v51, v51
	v_cvt_f32_i32_e32 v53, v53
	v_fma_mix_f32 v35, v48, v5, v35 op_sel_hi:[1,1,0]
	v_cvt_f16_f32_e32 v9, v9
	v_sub_u32_sdwa v14, v14, v29 dst_sel:DWORD dst_unused:UNUSED_PAD src0_sel:BYTE_3 src1_sel:DWORD
	v_fma_mix_f32 v35, v13, v5, v35 op_sel:[0,1,0] op_sel_hi:[1,1,0]
	v_cvt_f32_i32_e32 v14, v14
	v_fma_mix_f32 v35, v49, v6, v35 op_sel_hi:[1,1,0]
	v_cvt_f16_f32_e32 v52, v52
	v_fma_mix_f32 v35, v50, v6, v35 op_sel:[0,1,0] op_sel_hi:[1,1,0]
	v_cvt_f16_f32_e32 v53, v53
	v_fma_mix_f32 v35, v51, v7, v35 op_sel_hi:[1,1,0]
	v_sub_u32_sdwa v10, v10, v29 dst_sel:DWORD dst_unused:UNUSED_PAD src0_sel:BYTE_3 src1_sel:DWORD
	v_fma_mix_f32 v35, v9, v7, v35 op_sel:[0,1,0] op_sel_hi:[1,1,0]
	v_cvt_f16_f32_e32 v14, v14
	v_cvt_f32_i32_e32 v10, v10
	v_fma_mixlo_f16 v35, v35, v18, 0 op_sel:[0,1,0] op_sel_hi:[0,1,0]
	v_add_f16_e32 v95, v34, v35
	v_fma_mix_f32 v34, v52, v4, 0 op_sel_hi:[1,1,0]
	v_cvt_f16_f32_e32 v10, v10
	v_fma_mix_f32 v34, v53, v4, v34 op_sel:[0,1,0] op_sel_hi:[1,1,0]
	v_sub_u32_sdwa v15, v15, v28 dst_sel:DWORD dst_unused:UNUSED_PAD src0_sel:BYTE_3 src1_sel:DWORD
	v_fma_mix_f32 v34, v84, v5, v34 op_sel_hi:[1,1,0]
	v_cvt_f32_i32_e32 v15, v15
	v_fma_mix_f32 v34, v14, v5, v34 op_sel:[0,1,0] op_sel_hi:[1,1,0]
	v_sub_u32_sdwa v11, v11, v28 dst_sel:DWORD dst_unused:UNUSED_PAD src0_sel:BYTE_3 src1_sel:DWORD
	v_fma_mix_f32 v34, v85, v6, v34 op_sel_hi:[1,1,0]
	v_cvt_f16_f32_e32 v15, v15
	v_fma_mix_f32 v34, v86, v6, v34 op_sel:[0,1,0] op_sel_hi:[1,1,0]
	v_cvt_f32_i32_e32 v11, v11
	v_fma_mix_f32 v34, v87, v7, v34 op_sel_hi:[1,1,0]
	v_cvt_f16_f32_e32 v11, v11
	v_fma_mix_f32 v34, v10, v7, v34 op_sel:[0,1,0] op_sel_hi:[1,1,0]
	s_nop 0
	v_fma_mixlo_f16 v34, v34, v19, 0 op_sel_hi:[0,1,0]
	v_add_f16_e32 v96, v33, v34
	v_fma_mix_f32 v33, v88, v4, 0 op_sel_hi:[1,1,0]
	s_nop 0
	v_fma_mix_f32 v4, v89, v4, v33 op_sel:[0,1,0] op_sel_hi:[1,1,0]
	s_nop 0
	v_fma_mix_f32 v4, v90, v5, v4 op_sel_hi:[1,1,0]
	s_nop 0
	v_fma_mix_f32 v4, v15, v5, v4 op_sel:[0,1,0] op_sel_hi:[1,1,0]
	s_nop 0
	;; [unrolled: 4-line block ×4, first 2 shown]
	v_fma_mixlo_f16 v4, v4, v19, 0 op_sel:[0,1,0] op_sel_hi:[0,1,0]
	v_add_f16_e32 v97, v32, v4
	ds_read_b128 v[4:7], v27 offset:288
	s_waitcnt lgkmcnt(0)
	v_fma_mix_f32 v32, v40, v4, 0 op_sel_hi:[1,1,0]
	s_nop 0
	v_fma_mix_f32 v32, v41, v4, v32 op_sel:[0,1,0] op_sel_hi:[1,1,0]
	s_nop 0
	v_fma_mix_f32 v32, v42, v5, v32 op_sel_hi:[1,1,0]
	s_nop 0
	v_fma_mix_f32 v32, v12, v5, v32 op_sel:[0,1,0] op_sel_hi:[1,1,0]
	s_nop 0
	;; [unrolled: 4-line block ×4, first 2 shown]
	v_fma_mixlo_f16 v32, v32, v18, 0 op_sel_hi:[0,1,0]
	v_add_f16_e32 v55, v68, v32
	v_fma_mix_f32 v32, v46, v4, 0 op_sel_hi:[1,1,0]
	s_nop 0
	v_fma_mix_f32 v32, v47, v4, v32 op_sel:[0,1,0] op_sel_hi:[1,1,0]
	s_nop 0
	v_fma_mix_f32 v32, v48, v5, v32 op_sel_hi:[1,1,0]
	s_nop 0
	v_fma_mix_f32 v32, v13, v5, v32 op_sel:[0,1,0] op_sel_hi:[1,1,0]
	s_nop 0
	;; [unrolled: 4-line block ×4, first 2 shown]
	v_fma_mixlo_f16 v32, v32, v18, 0 op_sel:[0,1,0] op_sel_hi:[0,1,0]
	v_add_f16_e32 v69, v69, v32
	v_fma_mix_f32 v32, v52, v4, 0 op_sel_hi:[1,1,0]
	s_nop 0
	v_fma_mix_f32 v32, v53, v4, v32 op_sel:[0,1,0] op_sel_hi:[1,1,0]
	s_nop 0
	v_fma_mix_f32 v32, v84, v5, v32 op_sel_hi:[1,1,0]
	s_nop 0
	v_fma_mix_f32 v32, v14, v5, v32 op_sel:[0,1,0] op_sel_hi:[1,1,0]
	s_nop 0
	;; [unrolled: 4-line block ×4, first 2 shown]
	v_fma_mixlo_f16 v32, v32, v19, 0 op_sel_hi:[0,1,0]
	v_add_f16_e32 v54, v70, v32
	v_fma_mix_f32 v32, v88, v4, 0 op_sel_hi:[1,1,0]
	s_nop 0
	v_fma_mix_f32 v4, v89, v4, v32 op_sel:[0,1,0] op_sel_hi:[1,1,0]
	s_nop 0
	v_fma_mix_f32 v4, v90, v5, v4 op_sel_hi:[1,1,0]
	s_nop 0
	v_fma_mix_f32 v4, v15, v5, v4 op_sel:[0,1,0] op_sel_hi:[1,1,0]
	s_nop 0
	;; [unrolled: 4-line block ×4, first 2 shown]
	v_fma_mixlo_f16 v4, v4, v19, 0 op_sel:[0,1,0] op_sel_hi:[0,1,0]
	v_add_f16_e32 v68, v71, v4
	ds_read_b128 v[4:7], v27 offset:544
	s_waitcnt lgkmcnt(0)
	v_fma_mix_f32 v32, v40, v4, 0 op_sel_hi:[1,1,0]
	s_nop 0
	v_fma_mix_f32 v32, v41, v4, v32 op_sel:[0,1,0] op_sel_hi:[1,1,0]
	s_nop 0
	v_fma_mix_f32 v32, v42, v5, v32 op_sel_hi:[1,1,0]
	s_nop 0
	v_fma_mix_f32 v32, v12, v5, v32 op_sel:[0,1,0] op_sel_hi:[1,1,0]
	s_nop 0
	v_fma_mix_f32 v32, v43, v6, v32 op_sel_hi:[1,1,0]
	s_nop 0
	v_fma_mix_f32 v32, v44, v6, v32 op_sel:[0,1,0] op_sel_hi:[1,1,0]
	s_nop 0
	v_fma_mix_f32 v32, v45, v7, v32 op_sel_hi:[1,1,0]
	s_nop 0
	v_fma_mix_f32 v32, v8, v7, v32 op_sel:[0,1,0] op_sel_hi:[1,1,0]
	s_nop 0
	v_fma_mixlo_f16 v32, v32, v18, 0 op_sel_hi:[0,1,0]
	v_add_f16_e32 v57, v72, v32
	v_fma_mix_f32 v32, v46, v4, 0 op_sel_hi:[1,1,0]
	s_nop 0
	v_fma_mix_f32 v32, v47, v4, v32 op_sel:[0,1,0] op_sel_hi:[1,1,0]
	s_nop 0
	v_fma_mix_f32 v32, v48, v5, v32 op_sel_hi:[1,1,0]
	s_nop 0
	v_fma_mix_f32 v32, v13, v5, v32 op_sel:[0,1,0] op_sel_hi:[1,1,0]
	s_nop 0
	;; [unrolled: 4-line block ×4, first 2 shown]
	v_fma_mixlo_f16 v32, v32, v18, 0 op_sel:[0,1,0] op_sel_hi:[0,1,0]
	v_add_f16_e32 v67, v73, v32
	v_fma_mix_f32 v32, v52, v4, 0 op_sel_hi:[1,1,0]
	s_nop 0
	v_fma_mix_f32 v32, v53, v4, v32 op_sel:[0,1,0] op_sel_hi:[1,1,0]
	s_nop 0
	v_fma_mix_f32 v32, v84, v5, v32 op_sel_hi:[1,1,0]
	s_nop 0
	v_fma_mix_f32 v32, v14, v5, v32 op_sel:[0,1,0] op_sel_hi:[1,1,0]
	s_nop 0
	;; [unrolled: 4-line block ×4, first 2 shown]
	v_fma_mixlo_f16 v32, v32, v19, 0 op_sel_hi:[0,1,0]
	v_add_f16_e32 v56, v74, v32
	v_fma_mix_f32 v32, v88, v4, 0 op_sel_hi:[1,1,0]
	s_nop 0
	v_fma_mix_f32 v4, v89, v4, v32 op_sel:[0,1,0] op_sel_hi:[1,1,0]
	s_nop 0
	v_fma_mix_f32 v4, v90, v5, v4 op_sel_hi:[1,1,0]
	s_nop 0
	v_fma_mix_f32 v4, v15, v5, v4 op_sel:[0,1,0] op_sel_hi:[1,1,0]
	s_nop 0
	;; [unrolled: 4-line block ×4, first 2 shown]
	v_fma_mixlo_f16 v4, v4, v19, 0 op_sel:[0,1,0] op_sel_hi:[0,1,0]
	v_add_f16_e32 v66, v75, v4
	ds_read_b128 v[4:7], v27 offset:800
	s_waitcnt lgkmcnt(0)
	v_fma_mix_f32 v32, v40, v4, 0 op_sel_hi:[1,1,0]
	s_nop 0
	v_fma_mix_f32 v32, v41, v4, v32 op_sel:[0,1,0] op_sel_hi:[1,1,0]
	s_nop 0
	v_fma_mix_f32 v32, v42, v5, v32 op_sel_hi:[1,1,0]
	s_nop 0
	v_fma_mix_f32 v32, v12, v5, v32 op_sel:[0,1,0] op_sel_hi:[1,1,0]
	s_nop 0
	;; [unrolled: 4-line block ×4, first 2 shown]
	v_fma_mixlo_f16 v32, v32, v18, 0 op_sel_hi:[0,1,0]
	v_add_f16_e32 v59, v76, v32
	v_fma_mix_f32 v32, v46, v4, 0 op_sel_hi:[1,1,0]
	s_nop 0
	v_fma_mix_f32 v32, v47, v4, v32 op_sel:[0,1,0] op_sel_hi:[1,1,0]
	s_nop 0
	v_fma_mix_f32 v32, v48, v5, v32 op_sel_hi:[1,1,0]
	s_nop 0
	v_fma_mix_f32 v32, v13, v5, v32 op_sel:[0,1,0] op_sel_hi:[1,1,0]
	s_nop 0
	;; [unrolled: 4-line block ×4, first 2 shown]
	v_fma_mixlo_f16 v32, v32, v18, 0 op_sel:[0,1,0] op_sel_hi:[0,1,0]
	v_add_f16_e32 v65, v77, v32
	v_fma_mix_f32 v32, v52, v4, 0 op_sel_hi:[1,1,0]
	s_nop 0
	v_fma_mix_f32 v32, v53, v4, v32 op_sel:[0,1,0] op_sel_hi:[1,1,0]
	s_nop 0
	v_fma_mix_f32 v32, v84, v5, v32 op_sel_hi:[1,1,0]
	s_nop 0
	v_fma_mix_f32 v32, v14, v5, v32 op_sel:[0,1,0] op_sel_hi:[1,1,0]
	s_nop 0
	;; [unrolled: 4-line block ×4, first 2 shown]
	v_fma_mixlo_f16 v32, v32, v19, 0 op_sel_hi:[0,1,0]
	v_add_f16_e32 v58, v78, v32
	v_fma_mix_f32 v32, v88, v4, 0 op_sel_hi:[1,1,0]
	s_nop 0
	v_fma_mix_f32 v4, v89, v4, v32 op_sel:[0,1,0] op_sel_hi:[1,1,0]
	s_nop 0
	v_fma_mix_f32 v4, v90, v5, v4 op_sel_hi:[1,1,0]
	s_nop 0
	v_fma_mix_f32 v4, v15, v5, v4 op_sel:[0,1,0] op_sel_hi:[1,1,0]
	s_nop 0
	;; [unrolled: 4-line block ×4, first 2 shown]
	v_fma_mixlo_f16 v4, v4, v19, 0 op_sel:[0,1,0] op_sel_hi:[0,1,0]
	v_add_f16_e32 v64, v79, v4
	ds_read_b128 v[4:7], v27 offset:1056
	s_waitcnt lgkmcnt(0)
	v_fma_mix_f32 v32, v40, v4, 0 op_sel_hi:[1,1,0]
	s_nop 0
	v_fma_mix_f32 v32, v41, v4, v32 op_sel:[0,1,0] op_sel_hi:[1,1,0]
	s_nop 0
	v_fma_mix_f32 v32, v42, v5, v32 op_sel_hi:[1,1,0]
	s_nop 0
	v_fma_mix_f32 v32, v12, v5, v32 op_sel:[0,1,0] op_sel_hi:[1,1,0]
	s_nop 0
	;; [unrolled: 4-line block ×4, first 2 shown]
	v_fma_mixlo_f16 v32, v32, v18, 0 op_sel_hi:[0,1,0]
	v_add_f16_e32 v61, v80, v32
	v_fma_mix_f32 v32, v46, v4, 0 op_sel_hi:[1,1,0]
	s_nop 0
	v_fma_mix_f32 v32, v47, v4, v32 op_sel:[0,1,0] op_sel_hi:[1,1,0]
	s_nop 0
	v_fma_mix_f32 v32, v48, v5, v32 op_sel_hi:[1,1,0]
	s_nop 0
	v_fma_mix_f32 v32, v13, v5, v32 op_sel:[0,1,0] op_sel_hi:[1,1,0]
	s_nop 0
	;; [unrolled: 4-line block ×4, first 2 shown]
	v_fma_mixlo_f16 v32, v32, v18, 0 op_sel:[0,1,0] op_sel_hi:[0,1,0]
	v_add_f16_e32 v63, v81, v32
	v_fma_mix_f32 v32, v52, v4, 0 op_sel_hi:[1,1,0]
	s_nop 0
	v_fma_mix_f32 v32, v53, v4, v32 op_sel:[0,1,0] op_sel_hi:[1,1,0]
	s_nop 0
	v_fma_mix_f32 v32, v84, v5, v32 op_sel_hi:[1,1,0]
	s_nop 0
	v_fma_mix_f32 v32, v14, v5, v32 op_sel:[0,1,0] op_sel_hi:[1,1,0]
	s_nop 0
	;; [unrolled: 4-line block ×4, first 2 shown]
	v_fma_mixlo_f16 v32, v32, v19, 0 op_sel_hi:[0,1,0]
	v_add_f16_e32 v60, v82, v32
	v_fma_mix_f32 v32, v88, v4, 0 op_sel_hi:[1,1,0]
	s_nop 0
	v_fma_mix_f32 v4, v89, v4, v32 op_sel:[0,1,0] op_sel_hi:[1,1,0]
	ds_read_b128 v[32:35], v27 offset:1312
	v_fma_mix_f32 v4, v90, v5, v4 op_sel_hi:[1,1,0]
	s_nop 0
	v_fma_mix_f32 v4, v15, v5, v4 op_sel:[0,1,0] op_sel_hi:[1,1,0]
	s_nop 0
	v_fma_mix_f32 v4, v91, v6, v4 op_sel_hi:[1,1,0]
	s_nop 0
	v_fma_mix_f32 v4, v92, v6, v4 op_sel:[0,1,0] op_sel_hi:[1,1,0]
	s_nop 0
	;; [unrolled: 4-line block ×3, first 2 shown]
	v_fma_mixlo_f16 v4, v4, v19, 0 op_sel:[0,1,0] op_sel_hi:[0,1,0]
	v_add_f16_e32 v62, v83, v4
	s_waitcnt lgkmcnt(0)
	v_fma_mix_f32 v4, v40, v32, 0 op_sel_hi:[1,1,0]
	s_nop 0
	v_fma_mix_f32 v4, v41, v32, v4 op_sel:[0,1,0] op_sel_hi:[1,1,0]
	s_nop 0
	v_fma_mix_f32 v4, v42, v33, v4 op_sel_hi:[1,1,0]
	s_nop 0
	v_fma_mix_f32 v4, v12, v33, v4 op_sel:[0,1,0] op_sel_hi:[1,1,0]
	s_nop 0
	;; [unrolled: 4-line block ×4, first 2 shown]
	v_fma_mixlo_f16 v4, v4, v18, 0 op_sel_hi:[0,1,0]
	v_add_f16_e32 v8, v36, v4
	v_fma_mix_f32 v4, v46, v32, 0 op_sel_hi:[1,1,0]
	s_nop 0
	v_fma_mix_f32 v4, v47, v32, v4 op_sel:[0,1,0] op_sel_hi:[1,1,0]
	s_nop 0
	v_fma_mix_f32 v4, v48, v33, v4 op_sel_hi:[1,1,0]
	s_nop 0
	v_fma_mix_f32 v4, v13, v33, v4 op_sel:[0,1,0] op_sel_hi:[1,1,0]
	s_nop 0
	;; [unrolled: 4-line block ×4, first 2 shown]
	v_fma_mixlo_f16 v4, v4, v18, 0 op_sel:[0,1,0] op_sel_hi:[0,1,0]
	v_add_f16_e32 v9, v37, v4
	v_fma_mix_f32 v4, v52, v32, 0 op_sel_hi:[1,1,0]
	s_nop 0
	v_fma_mix_f32 v4, v53, v32, v4 op_sel:[0,1,0] op_sel_hi:[1,1,0]
	s_nop 0
	v_fma_mix_f32 v4, v84, v33, v4 op_sel_hi:[1,1,0]
	s_nop 0
	v_fma_mix_f32 v4, v14, v33, v4 op_sel:[0,1,0] op_sel_hi:[1,1,0]
	s_nop 0
	;; [unrolled: 4-line block ×4, first 2 shown]
	v_fma_mixlo_f16 v4, v4, v19, 0 op_sel_hi:[0,1,0]
	v_add_f16_e32 v6, v38, v4
	v_fma_mix_f32 v4, v88, v32, 0 op_sel_hi:[1,1,0]
	s_nop 0
	v_fma_mix_f32 v4, v89, v32, v4 op_sel:[0,1,0] op_sel_hi:[1,1,0]
	s_nop 0
	v_fma_mix_f32 v4, v90, v33, v4 op_sel_hi:[1,1,0]
	s_nop 0
	v_fma_mix_f32 v4, v15, v33, v4 op_sel:[0,1,0] op_sel_hi:[1,1,0]
	s_nop 0
	;; [unrolled: 4-line block ×4, first 2 shown]
	v_fma_mixlo_f16 v4, v4, v19, 0 op_sel:[0,1,0] op_sel_hi:[0,1,0]
	v_add_f16_e32 v7, v39, v4
	v_lshl_add_u64 v[4:5], v[20:21], 0, s[0:1]
	global_load_dwordx4 v[48:51], v[4:5], off
	v_lshl_add_u64 v[4:5], v[4:5], 0, s[0:1]
	global_load_dwordx4 v[70:73], v[4:5], off
	s_waitcnt vmcnt(1)
	v_sub_u32_sdwa v10, v48, v31 dst_sel:DWORD dst_unused:UNUSED_PAD src0_sel:BYTE_0 src1_sel:DWORD
	v_sub_u32_sdwa v11, v48, v31 dst_sel:DWORD dst_unused:UNUSED_PAD src0_sel:BYTE_1 src1_sel:DWORD
	s_waitcnt vmcnt(0)
	v_sub_u32_sdwa v14, v70, v31 dst_sel:DWORD dst_unused:UNUSED_PAD src0_sel:BYTE_0 src1_sel:DWORD
	v_cvt_f32_i32_e32 v14, v14
	v_sub_u32_sdwa v12, v48, v31 dst_sel:DWORD dst_unused:UNUSED_PAD src0_sel:BYTE_2 src1_sel:DWORD
	v_sub_u32_sdwa v13, v48, v31 dst_sel:DWORD dst_unused:UNUSED_PAD src0_sel:BYTE_3 src1_sel:DWORD
	v_cvt_f32_i32_e32 v10, v10
	v_cvt_f16_f32_e32 v20, v14
	v_sub_u32_sdwa v14, v70, v31 dst_sel:DWORD dst_unused:UNUSED_PAD src0_sel:BYTE_1 src1_sel:DWORD
	v_cvt_f32_i32_e32 v14, v14
	v_cvt_f32_i32_e32 v11, v11
	;; [unrolled: 1-line block ×4, first 2 shown]
	v_cvt_f16_f32_e32 v21, v14
	v_sub_u32_sdwa v14, v70, v31 dst_sel:DWORD dst_unused:UNUSED_PAD src0_sel:BYTE_2 src1_sel:DWORD
	v_cvt_f32_i32_e32 v14, v14
	v_cvt_f16_f32_e32 v10, v10
	v_cvt_f16_f32_e32 v11, v11
	;; [unrolled: 1-line block ×4, first 2 shown]
	v_sub_u32_sdwa v14, v70, v31 dst_sel:DWORD dst_unused:UNUSED_PAD src0_sel:BYTE_3 src1_sel:DWORD
	v_cvt_f32_i32_e32 v14, v14
	v_cvt_f16_f32_e32 v13, v13
	v_cvt_f16_f32_e32 v31, v14
	v_sub_u32_sdwa v14, v49, v30 dst_sel:DWORD dst_unused:UNUSED_PAD src0_sel:BYTE_0 src1_sel:DWORD
	v_cvt_f32_i32_e32 v14, v14
	v_cvt_f16_f32_e32 v33, v14
	v_sub_u32_sdwa v14, v49, v30 dst_sel:DWORD dst_unused:UNUSED_PAD src0_sel:BYTE_1 src1_sel:DWORD
	v_cvt_f32_i32_e32 v14, v14
	v_fma_mix_f32 v15, v33, v0, 0 op_sel_hi:[1,1,0]
	v_cvt_f16_f32_e32 v34, v14
	v_sub_u32_sdwa v14, v49, v30 dst_sel:DWORD dst_unused:UNUSED_PAD src0_sel:BYTE_2 src1_sel:DWORD
	v_cvt_f32_i32_e32 v14, v14
	v_fma_mix_f32 v15, v34, v0, v15 op_sel:[0,1,0] op_sel_hi:[1,1,0]
	v_cvt_f16_f32_e32 v35, v14
	v_sub_u32_sdwa v14, v49, v30 dst_sel:DWORD dst_unused:UNUSED_PAD src0_sel:BYTE_3 src1_sel:DWORD
	v_cvt_f32_i32_e32 v14, v14
	v_fma_mix_f32 v15, v35, v1, v15 op_sel_hi:[1,1,0]
	v_cvt_f16_f32_e32 v36, v14
	v_sub_u32_sdwa v14, v71, v30 dst_sel:DWORD dst_unused:UNUSED_PAD src0_sel:BYTE_0 src1_sel:DWORD
	v_cvt_f32_i32_e32 v14, v14
	v_fma_mix_f32 v15, v36, v1, v15 op_sel:[0,1,0] op_sel_hi:[1,1,0]
	v_cvt_f16_f32_e32 v37, v14
	v_sub_u32_sdwa v14, v71, v30 dst_sel:DWORD dst_unused:UNUSED_PAD src0_sel:BYTE_1 src1_sel:DWORD
	v_cvt_f32_i32_e32 v14, v14
	v_fma_mix_f32 v15, v37, v2, v15 op_sel_hi:[1,1,0]
	v_cvt_f16_f32_e32 v38, v14
	v_sub_u32_sdwa v14, v71, v30 dst_sel:DWORD dst_unused:UNUSED_PAD src0_sel:BYTE_2 src1_sel:DWORD
	v_cvt_f32_i32_e32 v14, v14
	v_fma_mix_f32 v15, v38, v2, v15 op_sel:[0,1,0] op_sel_hi:[1,1,0]
	v_cvt_f16_f32_e32 v39, v14
	v_sub_u32_sdwa v14, v71, v30 dst_sel:DWORD dst_unused:UNUSED_PAD src0_sel:BYTE_3 src1_sel:DWORD
	v_cvt_f32_i32_e32 v14, v14
	v_fma_mix_f32 v15, v39, v3, v15 op_sel_hi:[1,1,0]
	v_cvt_f16_f32_e32 v40, v14
	v_sub_u32_sdwa v14, v50, v29 dst_sel:DWORD dst_unused:UNUSED_PAD src0_sel:BYTE_0 src1_sel:DWORD
	v_cvt_f32_i32_e32 v14, v14
	v_fma_mix_f32 v15, v40, v3, v15 op_sel:[0,1,0] op_sel_hi:[1,1,0]
	s_nop 0
	v_fma_mixlo_f16 v15, v15, v18, 0 op_sel:[0,1,0] op_sel_hi:[0,1,0]
	v_cvt_f16_f32_e32 v30, v14
	v_sub_u32_sdwa v14, v50, v29 dst_sel:DWORD dst_unused:UNUSED_PAD src0_sel:BYTE_1 src1_sel:DWORD
	v_cvt_f32_i32_e32 v14, v14
	v_add_f16_e32 v15, v95, v15
	v_cvt_f16_f32_e32 v41, v14
	v_sub_u32_sdwa v14, v50, v29 dst_sel:DWORD dst_unused:UNUSED_PAD src0_sel:BYTE_2 src1_sel:DWORD
	v_cvt_f32_i32_e32 v14, v14
	v_cvt_f16_f32_e32 v42, v14
	v_sub_u32_sdwa v14, v50, v29 dst_sel:DWORD dst_unused:UNUSED_PAD src0_sel:BYTE_3 src1_sel:DWORD
	v_cvt_f32_i32_e32 v14, v14
	v_cvt_f16_f32_e32 v43, v14
	v_sub_u32_sdwa v14, v72, v29 dst_sel:DWORD dst_unused:UNUSED_PAD src0_sel:BYTE_0 src1_sel:DWORD
	v_cvt_f32_i32_e32 v14, v14
	v_cvt_f16_f32_e32 v44, v14
	v_sub_u32_sdwa v14, v72, v29 dst_sel:DWORD dst_unused:UNUSED_PAD src0_sel:BYTE_1 src1_sel:DWORD
	v_cvt_f32_i32_e32 v14, v14
	v_cvt_f16_f32_e32 v45, v14
	v_sub_u32_sdwa v14, v72, v29 dst_sel:DWORD dst_unused:UNUSED_PAD src0_sel:BYTE_2 src1_sel:DWORD
	v_cvt_f32_i32_e32 v14, v14
	v_cvt_f16_f32_e32 v46, v14
	v_sub_u32_sdwa v14, v72, v29 dst_sel:DWORD dst_unused:UNUSED_PAD src0_sel:BYTE_3 src1_sel:DWORD
	v_cvt_f32_i32_e32 v14, v14
	v_cvt_f16_f32_e32 v29, v14
	v_sub_u32_sdwa v14, v51, v28 dst_sel:DWORD dst_unused:UNUSED_PAD src0_sel:BYTE_0 src1_sel:DWORD
	v_cvt_f32_i32_e32 v14, v14
	v_cvt_f16_f32_e32 v47, v14
	v_sub_u32_sdwa v14, v51, v28 dst_sel:DWORD dst_unused:UNUSED_PAD src0_sel:BYTE_1 src1_sel:DWORD
	v_cvt_f32_i32_e32 v14, v14
	v_fma_mix_f32 v70, v47, v0, 0 op_sel_hi:[1,1,0]
	v_cvt_f16_f32_e32 v48, v14
	v_sub_u32_sdwa v14, v51, v28 dst_sel:DWORD dst_unused:UNUSED_PAD src0_sel:BYTE_2 src1_sel:DWORD
	v_cvt_f32_i32_e32 v14, v14
	v_cvt_f16_f32_e32 v49, v14
	v_sub_u32_sdwa v14, v51, v28 dst_sel:DWORD dst_unused:UNUSED_PAD src0_sel:BYTE_3 src1_sel:DWORD
	v_cvt_f32_i32_e32 v14, v14
	v_cvt_f16_f32_e32 v50, v14
	v_sub_u32_sdwa v14, v73, v28 dst_sel:DWORD dst_unused:UNUSED_PAD src0_sel:BYTE_0 src1_sel:DWORD
	v_cvt_f32_i32_e32 v14, v14
	v_cvt_f16_f32_e32 v51, v14
	v_sub_u32_sdwa v14, v73, v28 dst_sel:DWORD dst_unused:UNUSED_PAD src0_sel:BYTE_1 src1_sel:DWORD
	v_cvt_f32_i32_e32 v14, v14
	v_cvt_f16_f32_e32 v52, v14
	v_sub_u32_sdwa v14, v73, v28 dst_sel:DWORD dst_unused:UNUSED_PAD src0_sel:BYTE_2 src1_sel:DWORD
	v_cvt_f32_i32_e32 v14, v14
	v_cvt_f16_f32_e32 v53, v14
	v_sub_u32_sdwa v14, v73, v28 dst_sel:DWORD dst_unused:UNUSED_PAD src0_sel:BYTE_3 src1_sel:DWORD
	v_cvt_f32_i32_e32 v14, v14
	v_cvt_f16_f32_e32 v28, v14
	v_fma_mix_f32 v14, v10, v0, 0 op_sel_hi:[1,1,0]
	s_nop 0
	v_fma_mix_f32 v14, v11, v0, v14 op_sel:[0,1,0] op_sel_hi:[1,1,0]
	s_nop 0
	v_fma_mix_f32 v14, v12, v1, v14 op_sel_hi:[1,1,0]
	s_nop 0
	v_fma_mix_f32 v14, v13, v1, v14 op_sel:[0,1,0] op_sel_hi:[1,1,0]
	s_nop 0
	;; [unrolled: 4-line block ×4, first 2 shown]
	v_fma_mixlo_f16 v14, v14, v18, 0 op_sel_hi:[0,1,0]
	v_add_f16_e32 v14, v94, v14
	v_pack_b32_f16 v15, v14, v15
	v_fma_mix_f32 v14, v30, v0, 0 op_sel_hi:[1,1,0]
	s_nop 0
	v_fma_mix_f32 v14, v41, v0, v14 op_sel:[0,1,0] op_sel_hi:[1,1,0]
	v_fma_mix_f32 v0, v48, v0, v70 op_sel:[0,1,0] op_sel_hi:[1,1,0]
	v_fma_mix_f32 v14, v42, v1, v14 op_sel_hi:[1,1,0]
	v_fma_mix_f32 v0, v49, v1, v0 op_sel_hi:[1,1,0]
	v_fma_mix_f32 v14, v43, v1, v14 op_sel:[0,1,0] op_sel_hi:[1,1,0]
	v_fma_mix_f32 v0, v50, v1, v0 op_sel:[0,1,0] op_sel_hi:[1,1,0]
	v_fma_mix_f32 v14, v44, v2, v14 op_sel_hi:[1,1,0]
	v_fma_mix_f32 v0, v51, v2, v0 op_sel_hi:[1,1,0]
	;; [unrolled: 4-line block ×3, first 2 shown]
	v_fma_mix_f32 v14, v29, v3, v14 op_sel:[0,1,0] op_sel_hi:[1,1,0]
	v_fma_mix_f32 v0, v28, v3, v0 op_sel:[0,1,0] op_sel_hi:[1,1,0]
	v_fma_mixlo_f16 v14, v14, v19, 0 op_sel_hi:[0,1,0]
	v_fma_mixlo_f16 v0, v0, v19, 0 op_sel:[0,1,0] op_sel_hi:[0,1,0]
	v_add_f16_e32 v14, v96, v14
	v_add_f16_e32 v0, v97, v0
	v_pack_b32_f16 v14, v14, v0
	ds_read_b128 v[0:3], v27 offset:304
	s_waitcnt lgkmcnt(0)
	v_fma_mix_f32 v70, v10, v0, 0 op_sel_hi:[1,1,0]
	s_nop 0
	v_fma_mix_f32 v70, v11, v0, v70 op_sel:[0,1,0] op_sel_hi:[1,1,0]
	s_nop 0
	v_fma_mix_f32 v70, v12, v1, v70 op_sel_hi:[1,1,0]
	s_nop 0
	v_fma_mix_f32 v70, v13, v1, v70 op_sel:[0,1,0] op_sel_hi:[1,1,0]
	s_nop 0
	;; [unrolled: 4-line block ×4, first 2 shown]
	v_fma_mixlo_f16 v70, v70, v18, 0 op_sel_hi:[0,1,0]
	v_add_f16_e32 v55, v55, v70
	v_fma_mix_f32 v70, v33, v0, 0 op_sel_hi:[1,1,0]
	s_nop 0
	v_fma_mix_f32 v70, v34, v0, v70 op_sel:[0,1,0] op_sel_hi:[1,1,0]
	s_nop 0
	v_fma_mix_f32 v70, v35, v1, v70 op_sel_hi:[1,1,0]
	s_nop 0
	v_fma_mix_f32 v70, v36, v1, v70 op_sel:[0,1,0] op_sel_hi:[1,1,0]
	s_nop 0
	;; [unrolled: 4-line block ×4, first 2 shown]
	v_fma_mixlo_f16 v70, v70, v18, 0 op_sel:[0,1,0] op_sel_hi:[0,1,0]
	v_add_f16_e32 v69, v69, v70
	v_pack_b32_f16 v55, v55, v69
	v_fma_mix_f32 v69, v30, v0, 0 op_sel_hi:[1,1,0]
	s_nop 0
	v_fma_mix_f32 v69, v41, v0, v69 op_sel:[0,1,0] op_sel_hi:[1,1,0]
	s_nop 0
	v_fma_mix_f32 v69, v42, v1, v69 op_sel_hi:[1,1,0]
	s_nop 0
	v_fma_mix_f32 v69, v43, v1, v69 op_sel:[0,1,0] op_sel_hi:[1,1,0]
	s_nop 0
	;; [unrolled: 4-line block ×4, first 2 shown]
	v_fma_mixlo_f16 v69, v69, v19, 0 op_sel_hi:[0,1,0]
	v_add_f16_e32 v54, v54, v69
	v_fma_mix_f32 v69, v47, v0, 0 op_sel_hi:[1,1,0]
	s_nop 0
	v_fma_mix_f32 v0, v48, v0, v69 op_sel:[0,1,0] op_sel_hi:[1,1,0]
	s_nop 0
	v_fma_mix_f32 v0, v49, v1, v0 op_sel_hi:[1,1,0]
	s_nop 0
	v_fma_mix_f32 v0, v50, v1, v0 op_sel:[0,1,0] op_sel_hi:[1,1,0]
	s_nop 0
	;; [unrolled: 4-line block ×4, first 2 shown]
	v_fma_mixlo_f16 v0, v0, v19, 0 op_sel:[0,1,0] op_sel_hi:[0,1,0]
	v_add_f16_e32 v0, v68, v0
	v_pack_b32_f16 v54, v54, v0
	ds_read_b128 v[0:3], v27 offset:560
	s_waitcnt lgkmcnt(0)
	v_fma_mix_f32 v68, v10, v0, 0 op_sel_hi:[1,1,0]
	s_nop 0
	v_fma_mix_f32 v68, v11, v0, v68 op_sel:[0,1,0] op_sel_hi:[1,1,0]
	s_nop 0
	v_fma_mix_f32 v68, v12, v1, v68 op_sel_hi:[1,1,0]
	s_nop 0
	v_fma_mix_f32 v68, v13, v1, v68 op_sel:[0,1,0] op_sel_hi:[1,1,0]
	s_nop 0
	;; [unrolled: 4-line block ×4, first 2 shown]
	v_fma_mixlo_f16 v68, v68, v18, 0 op_sel_hi:[0,1,0]
	v_add_f16_e32 v57, v57, v68
	v_fma_mix_f32 v68, v33, v0, 0 op_sel_hi:[1,1,0]
	s_nop 0
	v_fma_mix_f32 v68, v34, v0, v68 op_sel:[0,1,0] op_sel_hi:[1,1,0]
	s_nop 0
	v_fma_mix_f32 v68, v35, v1, v68 op_sel_hi:[1,1,0]
	s_nop 0
	v_fma_mix_f32 v68, v36, v1, v68 op_sel:[0,1,0] op_sel_hi:[1,1,0]
	s_nop 0
	;; [unrolled: 4-line block ×4, first 2 shown]
	v_fma_mixlo_f16 v68, v68, v18, 0 op_sel:[0,1,0] op_sel_hi:[0,1,0]
	v_add_f16_e32 v67, v67, v68
	v_pack_b32_f16 v57, v57, v67
	v_fma_mix_f32 v67, v30, v0, 0 op_sel_hi:[1,1,0]
	s_nop 0
	v_fma_mix_f32 v67, v41, v0, v67 op_sel:[0,1,0] op_sel_hi:[1,1,0]
	s_nop 0
	v_fma_mix_f32 v67, v42, v1, v67 op_sel_hi:[1,1,0]
	s_nop 0
	v_fma_mix_f32 v67, v43, v1, v67 op_sel:[0,1,0] op_sel_hi:[1,1,0]
	s_nop 0
	;; [unrolled: 4-line block ×4, first 2 shown]
	v_fma_mixlo_f16 v67, v67, v19, 0 op_sel_hi:[0,1,0]
	v_add_f16_e32 v56, v56, v67
	v_fma_mix_f32 v67, v47, v0, 0 op_sel_hi:[1,1,0]
	s_nop 0
	v_fma_mix_f32 v0, v48, v0, v67 op_sel:[0,1,0] op_sel_hi:[1,1,0]
	s_nop 0
	v_fma_mix_f32 v0, v49, v1, v0 op_sel_hi:[1,1,0]
	s_nop 0
	v_fma_mix_f32 v0, v50, v1, v0 op_sel:[0,1,0] op_sel_hi:[1,1,0]
	s_nop 0
	;; [unrolled: 4-line block ×4, first 2 shown]
	v_fma_mixlo_f16 v0, v0, v19, 0 op_sel:[0,1,0] op_sel_hi:[0,1,0]
	v_add_f16_e32 v0, v66, v0
	v_pack_b32_f16 v56, v56, v0
	ds_read_b128 v[0:3], v27 offset:816
	s_waitcnt lgkmcnt(0)
	v_fma_mix_f32 v66, v10, v0, 0 op_sel_hi:[1,1,0]
	s_nop 0
	v_fma_mix_f32 v66, v11, v0, v66 op_sel:[0,1,0] op_sel_hi:[1,1,0]
	s_nop 0
	v_fma_mix_f32 v66, v12, v1, v66 op_sel_hi:[1,1,0]
	s_nop 0
	v_fma_mix_f32 v66, v13, v1, v66 op_sel:[0,1,0] op_sel_hi:[1,1,0]
	s_nop 0
	;; [unrolled: 4-line block ×4, first 2 shown]
	v_fma_mixlo_f16 v66, v66, v18, 0 op_sel_hi:[0,1,0]
	v_add_f16_e32 v59, v59, v66
	v_fma_mix_f32 v66, v33, v0, 0 op_sel_hi:[1,1,0]
	s_nop 0
	v_fma_mix_f32 v66, v34, v0, v66 op_sel:[0,1,0] op_sel_hi:[1,1,0]
	s_nop 0
	v_fma_mix_f32 v66, v35, v1, v66 op_sel_hi:[1,1,0]
	s_nop 0
	v_fma_mix_f32 v66, v36, v1, v66 op_sel:[0,1,0] op_sel_hi:[1,1,0]
	s_nop 0
	;; [unrolled: 4-line block ×4, first 2 shown]
	v_fma_mixlo_f16 v66, v66, v18, 0 op_sel:[0,1,0] op_sel_hi:[0,1,0]
	v_add_f16_e32 v65, v65, v66
	v_pack_b32_f16 v59, v59, v65
	v_fma_mix_f32 v65, v30, v0, 0 op_sel_hi:[1,1,0]
	s_nop 0
	v_fma_mix_f32 v65, v41, v0, v65 op_sel:[0,1,0] op_sel_hi:[1,1,0]
	s_nop 0
	v_fma_mix_f32 v65, v42, v1, v65 op_sel_hi:[1,1,0]
	s_nop 0
	v_fma_mix_f32 v65, v43, v1, v65 op_sel:[0,1,0] op_sel_hi:[1,1,0]
	s_nop 0
	;; [unrolled: 4-line block ×4, first 2 shown]
	v_fma_mixlo_f16 v65, v65, v19, 0 op_sel_hi:[0,1,0]
	v_add_f16_e32 v58, v58, v65
	v_fma_mix_f32 v65, v47, v0, 0 op_sel_hi:[1,1,0]
	s_nop 0
	v_fma_mix_f32 v0, v48, v0, v65 op_sel:[0,1,0] op_sel_hi:[1,1,0]
	s_nop 0
	v_fma_mix_f32 v0, v49, v1, v0 op_sel_hi:[1,1,0]
	s_nop 0
	v_fma_mix_f32 v0, v50, v1, v0 op_sel:[0,1,0] op_sel_hi:[1,1,0]
	s_nop 0
	;; [unrolled: 4-line block ×4, first 2 shown]
	v_fma_mixlo_f16 v0, v0, v19, 0 op_sel:[0,1,0] op_sel_hi:[0,1,0]
	v_add_f16_e32 v0, v64, v0
	v_pack_b32_f16 v58, v58, v0
	ds_read_b128 v[0:3], v27 offset:1072
	s_waitcnt lgkmcnt(0)
	v_fma_mix_f32 v64, v10, v0, 0 op_sel_hi:[1,1,0]
	s_nop 0
	v_fma_mix_f32 v64, v11, v0, v64 op_sel:[0,1,0] op_sel_hi:[1,1,0]
	s_nop 0
	v_fma_mix_f32 v64, v12, v1, v64 op_sel_hi:[1,1,0]
	s_nop 0
	v_fma_mix_f32 v64, v13, v1, v64 op_sel:[0,1,0] op_sel_hi:[1,1,0]
	s_nop 0
	;; [unrolled: 4-line block ×4, first 2 shown]
	v_fma_mixlo_f16 v64, v64, v18, 0 op_sel_hi:[0,1,0]
	v_add_f16_e32 v61, v61, v64
	v_fma_mix_f32 v64, v33, v0, 0 op_sel_hi:[1,1,0]
	s_nop 0
	v_fma_mix_f32 v64, v34, v0, v64 op_sel:[0,1,0] op_sel_hi:[1,1,0]
	s_nop 0
	v_fma_mix_f32 v64, v35, v1, v64 op_sel_hi:[1,1,0]
	s_nop 0
	v_fma_mix_f32 v64, v36, v1, v64 op_sel:[0,1,0] op_sel_hi:[1,1,0]
	s_nop 0
	;; [unrolled: 4-line block ×4, first 2 shown]
	v_fma_mixlo_f16 v64, v64, v18, 0 op_sel:[0,1,0] op_sel_hi:[0,1,0]
	v_add_f16_e32 v63, v63, v64
	v_pack_b32_f16 v61, v61, v63
	v_fma_mix_f32 v63, v30, v0, 0 op_sel_hi:[1,1,0]
	s_nop 0
	v_fma_mix_f32 v63, v41, v0, v63 op_sel:[0,1,0] op_sel_hi:[1,1,0]
	s_nop 0
	v_fma_mix_f32 v63, v42, v1, v63 op_sel_hi:[1,1,0]
	s_nop 0
	v_fma_mix_f32 v63, v43, v1, v63 op_sel:[0,1,0] op_sel_hi:[1,1,0]
	s_nop 0
	;; [unrolled: 4-line block ×4, first 2 shown]
	v_fma_mixlo_f16 v63, v63, v19, 0 op_sel_hi:[0,1,0]
	v_add_f16_e32 v60, v60, v63
	v_fma_mix_f32 v63, v47, v0, 0 op_sel_hi:[1,1,0]
	s_nop 0
	v_fma_mix_f32 v0, v48, v0, v63 op_sel:[0,1,0] op_sel_hi:[1,1,0]
	s_nop 0
	v_fma_mix_f32 v0, v49, v1, v0 op_sel_hi:[1,1,0]
	s_nop 0
	v_fma_mix_f32 v0, v50, v1, v0 op_sel:[0,1,0] op_sel_hi:[1,1,0]
	s_nop 0
	;; [unrolled: 4-line block ×4, first 2 shown]
	v_fma_mixlo_f16 v0, v0, v19, 0 op_sel:[0,1,0] op_sel_hi:[0,1,0]
	v_add_f16_e32 v0, v62, v0
	v_pack_b32_f16 v60, v60, v0
	ds_read_b128 v[0:3], v27 offset:1328
	s_waitcnt lgkmcnt(0)
	v_fma_mix_f32 v10, v10, v0, 0 op_sel_hi:[1,1,0]
	s_nop 0
	v_fma_mix_f32 v10, v11, v0, v10 op_sel:[0,1,0] op_sel_hi:[1,1,0]
	s_nop 0
	v_fma_mix_f32 v10, v12, v1, v10 op_sel_hi:[1,1,0]
	s_nop 0
	v_fma_mix_f32 v10, v13, v1, v10 op_sel:[0,1,0] op_sel_hi:[1,1,0]
	s_nop 0
	;; [unrolled: 4-line block ×4, first 2 shown]
	v_fma_mixlo_f16 v10, v10, v18, 0 op_sel_hi:[0,1,0]
	v_add_f16_e32 v8, v8, v10
	v_fma_mix_f32 v10, v33, v0, 0 op_sel_hi:[1,1,0]
	s_nop 0
	v_fma_mix_f32 v10, v34, v0, v10 op_sel:[0,1,0] op_sel_hi:[1,1,0]
	s_nop 0
	v_fma_mix_f32 v10, v35, v1, v10 op_sel_hi:[1,1,0]
	s_nop 0
	v_fma_mix_f32 v10, v36, v1, v10 op_sel:[0,1,0] op_sel_hi:[1,1,0]
	s_nop 0
	;; [unrolled: 4-line block ×4, first 2 shown]
	v_fma_mixlo_f16 v10, v10, v18, 0 op_sel:[0,1,0] op_sel_hi:[0,1,0]
	v_add_f16_e32 v9, v9, v10
	v_pack_b32_f16 v20, v8, v9
	v_fma_mix_f32 v8, v30, v0, 0 op_sel_hi:[1,1,0]
	s_nop 0
	v_fma_mix_f32 v8, v41, v0, v8 op_sel:[0,1,0] op_sel_hi:[1,1,0]
	s_nop 0
	v_fma_mix_f32 v8, v42, v1, v8 op_sel_hi:[1,1,0]
	s_nop 0
	v_fma_mix_f32 v8, v43, v1, v8 op_sel:[0,1,0] op_sel_hi:[1,1,0]
	s_nop 0
	;; [unrolled: 4-line block ×4, first 2 shown]
	v_fma_mixlo_f16 v8, v8, v19, 0 op_sel_hi:[0,1,0]
	v_add_f16_e32 v6, v6, v8
	v_fma_mix_f32 v8, v47, v0, 0 op_sel_hi:[1,1,0]
	s_nop 0
	v_fma_mix_f32 v0, v48, v0, v8 op_sel:[0,1,0] op_sel_hi:[1,1,0]
	s_nop 0
	v_fma_mix_f32 v0, v49, v1, v0 op_sel_hi:[1,1,0]
	s_nop 0
	v_fma_mix_f32 v0, v50, v1, v0 op_sel:[0,1,0] op_sel_hi:[1,1,0]
	s_nop 0
	v_fma_mix_f32 v0, v51, v2, v0 op_sel_hi:[1,1,0]
	s_nop 0
	v_fma_mix_f32 v0, v52, v2, v0 op_sel:[0,1,0] op_sel_hi:[1,1,0]
	s_nop 0
	v_fma_mix_f32 v0, v53, v3, v0 op_sel_hi:[1,1,0]
	s_nop 0
	v_fma_mix_f32 v0, v28, v3, v0 op_sel:[0,1,0] op_sel_hi:[1,1,0]
	s_nop 0
	v_fma_mixlo_f16 v0, v0, v19, 0 op_sel:[0,1,0] op_sel_hi:[0,1,0]
	v_add_f16_e32 v0, v7, v0
	v_pack_b32_f16 v32, v6, v0
	v_lshl_add_u64 v[0:1], v[4:5], 0, s[0:1]
	s_cbranch_scc1 .LBB38_20
.LBB38_18:                              ; =>This Inner Loop Header: Depth=1
	s_cmp_lg_u32 s24, s6
	s_cbranch_scc1 .LBB38_17
; %bb.19:                               ;   in Loop: Header=BB38_18 Depth=1
	s_add_i32 s5, s5, 1
	s_mul_i32 s7, s5, s16
	s_ashr_i32 s8, s7, 31
	s_lshr_b32 s8, s8, 30
	s_add_i32 s8, s7, s8
	s_ashr_i32 s8, s8, 2
	v_add_u32_e32 v2, s8, v22
	v_ashrrev_i32_e32 v3, 31, v2
	v_lshl_add_u64 v[2:3], v[2:3], 2, s[10:11]
	global_load_dword v4, v[2:3], off
	v_add_u32_e32 v2, s7, v16
	v_ashrrev_i32_e32 v3, 31, v2
	v_lshl_add_u64 v[2:3], v[2:3], 1, s[12:13]
	global_load_dwordx2 v[18:19], v[2:3], off
	s_add_i32 s6, s6, s4
	s_waitcnt vmcnt(1)
	v_and_b32_e32 v17, 0xff, v4
	v_bfe_u32 v24, v4, 8, 8
	v_bfe_u32 v25, v4, 16, 8
	v_lshrrev_b32_e32 v26, 24, v4
	s_branch .LBB38_17
.LBB38_20:
	s_mul_i32 s3, s3, s16
	v_add_u32_e32 v0, s3, v16
	v_ashrrev_i32_e32 v1, 31, v0
	v_lshl_add_u64 v[2:3], v[0:1], 1, s[14:15]
	global_load_dword v5, v[2:3], off
	s_mov_b64 s[0:1], 0
.LBB38_21:                              ; =>This Inner Loop Header: Depth=1
	s_waitcnt vmcnt(0)
	v_pk_add_f16 v4, v15, v5
	global_atomic_cmpswap v1, v[2:3], v[4:5], off sc0
	s_waitcnt vmcnt(0)
	v_cmp_eq_u32_e32 vcc, v5, v1
	s_or_b64 s[0:1], vcc, s[0:1]
	v_mov_b32_e32 v5, v1
	s_andn2_b64 exec, exec, s[0:1]
	s_cbranch_execnz .LBB38_21
; %bb.22:
	s_or_b64 exec, exec, s[0:1]
	global_load_dword v5, v[2:3], off offset:4
	s_mov_b64 s[0:1], 0
.LBB38_23:                              ; =>This Inner Loop Header: Depth=1
	s_waitcnt vmcnt(0)
	v_pk_add_f16 v4, v14, v5
	global_atomic_cmpswap v1, v[2:3], v[4:5], off offset:4 sc0
	s_waitcnt vmcnt(0)
	v_cmp_eq_u32_e32 vcc, v5, v1
	s_or_b64 s[0:1], vcc, s[0:1]
	v_mov_b32_e32 v5, v1
	s_andn2_b64 exec, exec, s[0:1]
	s_cbranch_execnz .LBB38_23
; %bb.24:
	s_or_b64 exec, exec, s[0:1]
	v_add_u32_e32 v0, s16, v0
	v_ashrrev_i32_e32 v1, 31, v0
	v_lshl_add_u64 v[2:3], v[0:1], 1, s[14:15]
	global_load_dword v5, v[2:3], off
	s_mov_b64 s[0:1], 0
.LBB38_25:                              ; =>This Inner Loop Header: Depth=1
	s_waitcnt vmcnt(0)
	v_pk_add_f16 v4, v55, v5
	global_atomic_cmpswap v1, v[2:3], v[4:5], off sc0
	s_waitcnt vmcnt(0)
	v_cmp_eq_u32_e32 vcc, v5, v1
	s_or_b64 s[0:1], vcc, s[0:1]
	v_mov_b32_e32 v5, v1
	s_andn2_b64 exec, exec, s[0:1]
	s_cbranch_execnz .LBB38_25
; %bb.26:
	s_or_b64 exec, exec, s[0:1]
	global_load_dword v5, v[2:3], off offset:4
	s_mov_b64 s[0:1], 0
.LBB38_27:                              ; =>This Inner Loop Header: Depth=1
	s_waitcnt vmcnt(0)
	v_pk_add_f16 v4, v54, v5
	global_atomic_cmpswap v1, v[2:3], v[4:5], off offset:4 sc0
	s_waitcnt vmcnt(0)
	v_cmp_eq_u32_e32 vcc, v5, v1
	s_or_b64 s[0:1], vcc, s[0:1]
	v_mov_b32_e32 v5, v1
	s_andn2_b64 exec, exec, s[0:1]
	s_cbranch_execnz .LBB38_27
; %bb.28:
	s_or_b64 exec, exec, s[0:1]
	;; [unrolled: 31-line block ×5, first 2 shown]
	v_add_u32_e32 v0, s16, v0
	v_ashrrev_i32_e32 v1, 31, v0
	v_lshl_add_u64 v[0:1], v[0:1], 1, s[14:15]
	global_load_dword v3, v[0:1], off
	s_mov_b64 s[0:1], 0
.LBB38_41:                              ; =>This Inner Loop Header: Depth=1
	s_waitcnt vmcnt(0)
	v_pk_add_f16 v2, v20, v3
	global_atomic_cmpswap v2, v[0:1], v[2:3], off sc0
	s_waitcnt vmcnt(0)
	v_cmp_eq_u32_e32 vcc, v3, v2
	s_or_b64 s[0:1], vcc, s[0:1]
	v_mov_b32_e32 v3, v2
	s_andn2_b64 exec, exec, s[0:1]
	s_cbranch_execnz .LBB38_41
; %bb.42:
	s_or_b64 exec, exec, s[0:1]
	global_load_dword v3, v[0:1], off offset:4
	s_mov_b64 s[0:1], 0
.LBB38_43:                              ; =>This Inner Loop Header: Depth=1
	s_waitcnt vmcnt(0)
	v_pk_add_f16 v2, v32, v3
	global_atomic_cmpswap v2, v[0:1], v[2:3], off offset:4 sc0
	s_waitcnt vmcnt(0)
	v_cmp_eq_u32_e32 vcc, v3, v2
	s_or_b64 s[0:1], vcc, s[0:1]
	v_mov_b32_e32 v3, v2
	s_andn2_b64 exec, exec, s[0:1]
	s_cbranch_execnz .LBB38_43
.LBB38_44:
	s_endpgm
	.section	.rodata,"a",@progbits
	.p2align	6, 0x0
	.amdhsa_kernel _ZN4vllm4gptq33gemm_half_q_half_gptq_8bit_kernelILb1ELi6EEEvPK6__halfPKjS6_S4_PS2_iiiibPKi
		.amdhsa_group_segment_fixed_size 1536
		.amdhsa_private_segment_fixed_size 0
		.amdhsa_kernarg_size 72
		.amdhsa_user_sgpr_count 2
		.amdhsa_user_sgpr_dispatch_ptr 0
		.amdhsa_user_sgpr_queue_ptr 0
		.amdhsa_user_sgpr_kernarg_segment_ptr 1
		.amdhsa_user_sgpr_dispatch_id 0
		.amdhsa_user_sgpr_kernarg_preload_length 0
		.amdhsa_user_sgpr_kernarg_preload_offset 0
		.amdhsa_user_sgpr_private_segment_size 0
		.amdhsa_uses_dynamic_stack 0
		.amdhsa_enable_private_segment 0
		.amdhsa_system_sgpr_workgroup_id_x 1
		.amdhsa_system_sgpr_workgroup_id_y 1
		.amdhsa_system_sgpr_workgroup_id_z 1
		.amdhsa_system_sgpr_workgroup_info 0
		.amdhsa_system_vgpr_workitem_id 0
		.amdhsa_next_free_vgpr 98
		.amdhsa_next_free_sgpr 26
		.amdhsa_accum_offset 100
		.amdhsa_reserve_vcc 1
		.amdhsa_float_round_mode_32 0
		.amdhsa_float_round_mode_16_64 0
		.amdhsa_float_denorm_mode_32 3
		.amdhsa_float_denorm_mode_16_64 3
		.amdhsa_dx10_clamp 1
		.amdhsa_ieee_mode 1
		.amdhsa_fp16_overflow 0
		.amdhsa_tg_split 0
		.amdhsa_exception_fp_ieee_invalid_op 0
		.amdhsa_exception_fp_denorm_src 0
		.amdhsa_exception_fp_ieee_div_zero 0
		.amdhsa_exception_fp_ieee_overflow 0
		.amdhsa_exception_fp_ieee_underflow 0
		.amdhsa_exception_fp_ieee_inexact 0
		.amdhsa_exception_int_div_zero 0
	.end_amdhsa_kernel
	.section	.text._ZN4vllm4gptq33gemm_half_q_half_gptq_8bit_kernelILb1ELi6EEEvPK6__halfPKjS6_S4_PS2_iiiibPKi,"axG",@progbits,_ZN4vllm4gptq33gemm_half_q_half_gptq_8bit_kernelILb1ELi6EEEvPK6__halfPKjS6_S4_PS2_iiiibPKi,comdat
.Lfunc_end38:
	.size	_ZN4vllm4gptq33gemm_half_q_half_gptq_8bit_kernelILb1ELi6EEEvPK6__halfPKjS6_S4_PS2_iiiibPKi, .Lfunc_end38-_ZN4vllm4gptq33gemm_half_q_half_gptq_8bit_kernelILb1ELi6EEEvPK6__halfPKjS6_S4_PS2_iiiibPKi
                                        ; -- End function
	.set _ZN4vllm4gptq33gemm_half_q_half_gptq_8bit_kernelILb1ELi6EEEvPK6__halfPKjS6_S4_PS2_iiiibPKi.num_vgpr, 98
	.set _ZN4vllm4gptq33gemm_half_q_half_gptq_8bit_kernelILb1ELi6EEEvPK6__halfPKjS6_S4_PS2_iiiibPKi.num_agpr, 0
	.set _ZN4vllm4gptq33gemm_half_q_half_gptq_8bit_kernelILb1ELi6EEEvPK6__halfPKjS6_S4_PS2_iiiibPKi.numbered_sgpr, 26
	.set _ZN4vllm4gptq33gemm_half_q_half_gptq_8bit_kernelILb1ELi6EEEvPK6__halfPKjS6_S4_PS2_iiiibPKi.num_named_barrier, 0
	.set _ZN4vllm4gptq33gemm_half_q_half_gptq_8bit_kernelILb1ELi6EEEvPK6__halfPKjS6_S4_PS2_iiiibPKi.private_seg_size, 0
	.set _ZN4vllm4gptq33gemm_half_q_half_gptq_8bit_kernelILb1ELi6EEEvPK6__halfPKjS6_S4_PS2_iiiibPKi.uses_vcc, 1
	.set _ZN4vllm4gptq33gemm_half_q_half_gptq_8bit_kernelILb1ELi6EEEvPK6__halfPKjS6_S4_PS2_iiiibPKi.uses_flat_scratch, 0
	.set _ZN4vllm4gptq33gemm_half_q_half_gptq_8bit_kernelILb1ELi6EEEvPK6__halfPKjS6_S4_PS2_iiiibPKi.has_dyn_sized_stack, 0
	.set _ZN4vllm4gptq33gemm_half_q_half_gptq_8bit_kernelILb1ELi6EEEvPK6__halfPKjS6_S4_PS2_iiiibPKi.has_recursion, 0
	.set _ZN4vllm4gptq33gemm_half_q_half_gptq_8bit_kernelILb1ELi6EEEvPK6__halfPKjS6_S4_PS2_iiiibPKi.has_indirect_call, 0
	.section	.AMDGPU.csdata,"",@progbits
; Kernel info:
; codeLenInByte = 14804
; TotalNumSgprs: 32
; NumVgprs: 98
; NumAgprs: 0
; TotalNumVgprs: 98
; ScratchSize: 0
; MemoryBound: 0
; FloatMode: 240
; IeeeMode: 1
; LDSByteSize: 1536 bytes/workgroup (compile time only)
; SGPRBlocks: 3
; VGPRBlocks: 12
; NumSGPRsForWavesPerEU: 32
; NumVGPRsForWavesPerEU: 98
; AccumOffset: 100
; Occupancy: 4
; WaveLimiterHint : 0
; COMPUTE_PGM_RSRC2:SCRATCH_EN: 0
; COMPUTE_PGM_RSRC2:USER_SGPR: 2
; COMPUTE_PGM_RSRC2:TRAP_HANDLER: 0
; COMPUTE_PGM_RSRC2:TGID_X_EN: 1
; COMPUTE_PGM_RSRC2:TGID_Y_EN: 1
; COMPUTE_PGM_RSRC2:TGID_Z_EN: 1
; COMPUTE_PGM_RSRC2:TIDIG_COMP_CNT: 0
; COMPUTE_PGM_RSRC3_GFX90A:ACCUM_OFFSET: 24
; COMPUTE_PGM_RSRC3_GFX90A:TG_SPLIT: 0
	.section	.text._ZN4vllm4gptq33gemm_half_q_half_gptq_2bit_kernelILb1ELi7EEEvPK6__halfPKjS6_S4_PS2_iiiibPKi,"axG",@progbits,_ZN4vllm4gptq33gemm_half_q_half_gptq_2bit_kernelILb1ELi7EEEvPK6__halfPKjS6_S4_PS2_iiiibPKi,comdat
	.protected	_ZN4vllm4gptq33gemm_half_q_half_gptq_2bit_kernelILb1ELi7EEEvPK6__halfPKjS6_S4_PS2_iiiibPKi ; -- Begin function _ZN4vllm4gptq33gemm_half_q_half_gptq_2bit_kernelILb1ELi7EEEvPK6__halfPKjS6_S4_PS2_iiiibPKi
	.globl	_ZN4vllm4gptq33gemm_half_q_half_gptq_2bit_kernelILb1ELi7EEEvPK6__halfPKjS6_S4_PS2_iiiibPKi
	.p2align	8
	.type	_ZN4vllm4gptq33gemm_half_q_half_gptq_2bit_kernelILb1ELi7EEEvPK6__halfPKjS6_S4_PS2_iiiibPKi,@function
_ZN4vllm4gptq33gemm_half_q_half_gptq_2bit_kernelILb1ELi7EEEvPK6__halfPKjS6_S4_PS2_iiiibPKi: ; @_ZN4vllm4gptq33gemm_half_q_half_gptq_2bit_kernelILb1ELi7EEEvPK6__halfPKjS6_S4_PS2_iiiibPKi
; %bb.0:
	s_load_dwordx8 s[8:15], s[0:1], 0x8
	s_load_dwordx4 s[16:19], s[0:1], 0x2c
	s_lshl_b32 s24, s4, 7
	s_add_i32 s4, s24, 0x80
	v_cvt_f64_u32_e32 v[2:3], s4
	s_mul_i32 s3, s3, 7
	s_waitcnt lgkmcnt(0)
	v_cvt_f64_i32_e32 v[4:5], s17
	v_min_f64 v[2:3], v[2:3], v[4:5]
	v_cvt_i32_f64_e32 v1, v[2:3]
	v_add_u32_e32 v2, s24, v0
	v_readfirstlane_b32 s25, v1
	v_cmp_lt_u32_e32 vcc, v2, v1
	s_and_saveexec_b64 s[4:5], vcc
	s_cbranch_execz .LBB39_16
; %bb.1:
	s_load_dwordx2 s[22:23], s[0:1], 0x40
	s_load_dwordx2 s[6:7], s[0:1], 0x0
	v_mov_b32_e32 v3, 0
	v_mov_b64_e32 v[6:7], v[2:3]
	s_waitcnt lgkmcnt(0)
	s_cmp_lg_u64 s[22:23], 0
	s_cselect_b64 s[20:21], -1, 0
	s_cmp_eq_u64 s[22:23], 0
	v_lshl_add_u64 v[4:5], v[2:3], 2, s[22:23]
	s_cbranch_scc1 .LBB39_3
; %bb.2:
	global_load_dword v6, v[4:5], off
	s_waitcnt vmcnt(0)
	v_ashrrev_i32_e32 v7, 31, v6
.LBB39_3:
	s_mul_i32 s22, s3, s17
	s_ashr_i32 s23, s22, 31
	s_lshl_b64 s[0:1], s[22:23], 1
	s_add_u32 s0, s6, s0
	s_addc_u32 s1, s7, s1
	v_lshl_add_u64 v[6:7], v[6:7], 1, s[0:1]
	global_load_ushort v6, v[6:7], off
	v_lshlrev_b32_e32 v1, 1, v0
	v_cndmask_b32_e64 v7, 0, 1, s[20:21]
	v_cmp_ne_u32_e64 s[0:1], 1, v7
	s_andn2_b64 vcc, exec, s[20:21]
	s_waitcnt vmcnt(0)
	ds_write_b16 v1, v6
	v_mov_b64_e32 v[6:7], v[2:3]
	s_cbranch_vccnz .LBB39_5
; %bb.4:
	global_load_dword v6, v[4:5], off
	s_waitcnt vmcnt(0)
	v_ashrrev_i32_e32 v7, 31, v6
.LBB39_5:
	s_add_i32 s20, s22, s17
	s_ashr_i32 s21, s20, 31
	s_lshl_b64 s[22:23], s[20:21], 1
	s_add_u32 s22, s6, s22
	s_addc_u32 s23, s7, s23
	v_lshl_add_u64 v[6:7], v[6:7], 1, s[22:23]
	global_load_ushort v6, v[6:7], off
	s_and_b64 vcc, exec, s[0:1]
	s_waitcnt vmcnt(0)
	ds_write_b16 v1, v6 offset:256
	v_mov_b64_e32 v[6:7], v[2:3]
	s_cbranch_vccnz .LBB39_7
; %bb.6:
	global_load_dword v6, v[4:5], off
	s_waitcnt vmcnt(0)
	v_ashrrev_i32_e32 v7, 31, v6
.LBB39_7:
	s_add_i32 s20, s20, s17
	s_ashr_i32 s21, s20, 31
	s_lshl_b64 s[22:23], s[20:21], 1
	s_add_u32 s22, s6, s22
	s_addc_u32 s23, s7, s23
	v_lshl_add_u64 v[6:7], v[6:7], 1, s[22:23]
	global_load_ushort v6, v[6:7], off
	s_and_b64 vcc, exec, s[0:1]
	s_waitcnt vmcnt(0)
	ds_write_b16 v1, v6 offset:512
	;; [unrolled: 17-line block ×5, first 2 shown]
	s_cbranch_vccnz .LBB39_15
; %bb.14:
	global_load_dword v2, v[4:5], off
	s_waitcnt vmcnt(0)
	v_ashrrev_i32_e32 v3, 31, v2
.LBB39_15:
	s_add_i32 s0, s20, s17
	s_ashr_i32 s1, s0, 31
	s_lshl_b64 s[0:1], s[0:1], 1
	s_add_u32 s0, s6, s0
	s_addc_u32 s1, s7, s1
	v_lshl_add_u64 v[2:3], v[2:3], 1, s[0:1]
	global_load_ushort v2, v[2:3], off
	s_waitcnt vmcnt(0)
	ds_write_b16 v1, v2 offset:1536
.LBB39_16:
	s_or_b64 exec, exec, s[4:5]
	v_lshlrev_b32_e32 v1, 2, v0
	v_lshl_add_u32 v4, s2, 9, v1
	v_cmp_gt_i32_e32 vcc, s16, v4
	s_and_saveexec_b64 s[0:1], vcc
	s_cbranch_execz .LBB39_50
; %bb.17:
	s_abs_i32 s0, s18
	v_cvt_f32_u32_e32 v1, s0
	s_mov_b32 s2, 0
	v_mov_b32_e32 v32, 0
	v_mov_b32_e32 v30, 0
	v_rcp_iflag_f32_e32 v1, v1
	v_mov_b32_e32 v29, 0
	v_mov_b32_e32 v28, 0
	s_cmp_ge_i32 s24, s25
	v_mul_f32_e32 v1, 0x4f7ffffe, v1
	v_cvt_u32_f32_e32 v1, v1
	v_mov_b32_e32 v27, 0
	v_mov_b32_e32 v26, 0
	;; [unrolled: 1-line block ×3, first 2 shown]
	v_readfirstlane_b32 s1, v1
	v_mov_b32_e32 v24, 0
	v_mov_b32_e32 v23, 0
	;; [unrolled: 1-line block ×7, first 2 shown]
	s_waitcnt lgkmcnt(0)
	s_barrier
	s_cbranch_scc1 .LBB39_22
; %bb.18:
	s_sub_i32 s7, 0, s0
	s_mul_i32 s7, s7, s1
	s_mul_hi_u32 s7, s1, s7
	s_abs_i32 s6, s17
	s_add_i32 s1, s1, s7
	s_ashr_i32 s4, s17, 31
	s_ashr_i32 s5, s18, 31
	s_mul_hi_u32 s1, s6, s1
	s_xor_b32 s4, s4, s5
	s_mul_i32 s5, s1, s0
	s_sub_i32 s5, s6, s5
	s_add_i32 s6, s1, 1
	s_sub_i32 s7, s5, s0
	s_cmp_ge_u32 s5, s0
	s_cselect_b32 s1, s6, s1
	s_cselect_b32 s5, s7, s5
	s_add_i32 s6, s1, 1
	s_cmp_ge_u32 s5, s0
	s_cselect_b32 s0, s6, s1
	s_xor_b32 s0, s0, s4
	s_sub_i32 s4, s0, s4
	v_cvt_f32_u32_e32 v1, s4
	s_bitcmp1_b32 s19, 0
	s_cselect_b64 s[0:1], -1, 0
	s_sub_i32 s5, 0, s4
	v_rcp_iflag_f32_e32 v1, v1
	s_xor_b64 s[0:1], s[0:1], -1
	v_ashrrev_i32_e32 v5, 31, v4
	v_lshrrev_b32_e32 v2, 28, v5
	v_mul_f32_e32 v1, 0x4f7ffffe, v1
	v_cvt_u32_f32_e32 v1, v1
	v_add_u32_e32 v2, v4, v2
	v_ashrrev_i32_e32 v31, 4, v2
	v_cndmask_b32_e64 v35, 0, 1, s[0:1]
	v_readfirstlane_b32 s6, v1
	s_mul_i32 s5, s5, s6
	s_mul_hi_u32 s5, s6, s5
	s_add_i32 s6, s6, s5
	s_mul_hi_u32 s5, s24, s6
	s_mul_i32 s6, s5, s4
	s_sub_i32 s6, s24, s6
	s_add_i32 s7, s5, 1
	s_sub_i32 s17, s6, s4
	s_cmp_ge_u32 s6, s4
	s_cselect_b32 s5, s7, s5
	s_cselect_b32 s6, s17, s6
	s_add_i32 s7, s5, 1
	s_cmp_ge_u32 s6, s4
	s_cselect_b32 s5, s7, s5
	s_mul_i32 s6, s5, s16
	s_ashr_i32 s7, s6, 31
	s_lshr_b32 s7, s7, 28
	s_add_i32 s7, s6, s7
	s_ashr_i32 s7, s7, 4
	v_add_u32_e32 v2, s7, v31
	v_ashrrev_i32_e32 v3, 31, v2
	v_lshl_add_u64 v[2:3], v[2:3], 2, s[10:11]
	global_load_dword v10, v[2:3], off
	v_add_u32_e32 v2, s6, v4
	v_ashrrev_i32_e32 v3, 31, v2
	v_lshl_add_u64 v[2:3], v[2:3], 1, s[12:13]
	global_load_dwordx2 v[6:7], v[2:3], off
	s_lshr_b32 s0, s24, 4
	s_mul_i32 s0, s16, s0
	s_ashr_i32 s1, s0, 31
	s_add_i32 s21, s4, s24
	s_ashr_i32 s17, s16, 31
	s_lshl_b64 s[0:1], s[0:1], 2
	s_add_u32 s8, s8, s0
	s_addc_u32 s9, s9, s1
	v_lshlrev_b32_e32 v2, 3, v0
	v_lshl_add_u64 v[0:1], v[4:5], 2, s[8:9]
	v_and_b32_e32 v34, 24, v2
	v_lshl_add_u64 v[8:9], v[0:1], 0, 8
	v_mov_b32_e32 v18, 0
	s_mov_b32 s6, 0x10001
	v_mov_b32_e32 v33, 0xe400e400
	s_movk_i32 s7, 0x3400
	s_movk_i32 s18, 0x2c00
	;; [unrolled: 1-line block ×3, first 2 shown]
	s_mov_b32 s20, 0x7060302
	v_mov_b32_e32 v19, 0
	v_mov_b32_e32 v20, 0
	;; [unrolled: 1-line block ×12, first 2 shown]
	s_lshl_b64 s[0:1], s[16:17], 2
	v_mov_b32_e32 v32, 0
	s_waitcnt vmcnt(1)
	v_lshrrev_b32_e32 v0, v2, v10
	v_bfe_u32 v5, v10, v34, 2
	v_bfe_u32 v36, v0, 2, 2
	;; [unrolled: 1-line block ×4, first 2 shown]
	s_branch .LBB39_20
.LBB39_19:                              ;   in Loop: Header=BB39_20 Depth=1
	global_load_dwordx4 v[0:3], v[8:9], off offset:-8
	v_add_u32_e32 v10, v5, v35
	v_add_u32_e32 v11, v36, v35
	;; [unrolled: 1-line block ×3, first 2 shown]
	v_cvt_f32_i32_e32 v39, v10
	v_cvt_f32_i32_e32 v41, v11
	v_add_u32_e32 v13, v38, v35
	v_cvt_f32_i32_e32 v43, v12
	v_cvt_f32_i32_e32 v45, v13
	v_and_b32_e32 v40, 0x1bff, v10
	v_and_b32_e32 v47, 0x1bff, v13
	v_mad_u32_u24 v52, v40, s6, v33
	v_cvt_f16_f32_e32 v39, v39
	v_cvt_f16_f32_e32 v40, v41
	v_mad_u32_u24 v58, v47, s6, v33
	v_cvt_f16_f32_e32 v47, v43
	v_cvt_f16_f32_e32 v45, v45
	v_and_b32_e32 v42, 0x1bff, v11
	v_mad_u32_u24 v53, v42, s6, v33
	v_sub_f16_e32 v41, 0xdc00, v39
	v_sub_f16_e32 v42, 0xdc00, v40
	;; [unrolled: 1-line block ×6, first 2 shown]
	v_mov_b32_e32 v46, s2
	v_and_b32_e32 v44, 0x1bff, v12
	v_sub_f16_e32 v43, 0xdc00, v47
	v_mul_u32_u24_e32 v55, 0x10001, v41
	v_mul_u32_u24_e32 v59, 0x10001, v42
	;; [unrolled: 1-line block ×6, first 2 shown]
	ds_read2_b32 v[12:13], v46 offset1:1
	ds_read2_b32 v[14:15], v46 offset0:2 offset1:3
	ds_read2_b32 v[10:11], v46 offset0:4 offset1:5
	;; [unrolled: 1-line block ×3, first 2 shown]
	v_mad_u32_u24 v56, v44, s6, v33
	v_sub_f16_e32 v44, 0xdc00, v45
	v_mul_u32_u24_e32 v60, 0x10001, v43
	v_mul_u32_u24_e32 v61, 0x10001, v44
	s_add_i32 s8, s2, 0x400
	s_add_i32 s24, s24, 16
	v_lshl_add_u64 v[8:9], v[8:9], 0, s[0:1]
	s_waitcnt vmcnt(0)
	v_and_b32_e32 v39, 0x30003, v0
	v_and_b32_e32 v40, 0xc000c, v0
	v_and_b32_e32 v48, 0x300030, v0
	v_and_b32_e32 v49, 0xc000c0, v0
	v_lshrrev_b32_e32 v66, 8, v0
	v_and_b32_e32 v0, 0x30003, v1
	v_and_b32_e32 v41, 0xc000c, v1
	v_and_b32_e32 v54, 0x300030, v1
	v_and_b32_e32 v57, 0xc000c0, v1
	v_lshrrev_b32_e32 v67, 8, v1
	;; [unrolled: 5-line block ×4, first 2 shown]
	v_or_b32_e32 v3, 0x64006400, v39
	v_or_b32_e32 v0, 0x64006400, v0
	;; [unrolled: 1-line block ×8, first 2 shown]
	v_pk_add_f16 v43, v52, v3
	v_pk_add_f16 v41, v53, v0
	;; [unrolled: 1-line block ×4, first 2 shown]
	v_pk_fma_f16 v44, v39, s7, v55 op_sel_hi:[1,0,1]
	v_pk_fma_f16 v42, v40, s7, v59 op_sel_hi:[1,0,1]
	;; [unrolled: 1-line block ×4, first 2 shown]
	s_waitcnt lgkmcnt(3)
	v_pk_fma_f16 v39, v43, v12, 0
	v_pk_fma_f16 v40, v41, v12, 0
	;; [unrolled: 1-line block ×6, first 2 shown]
	v_sub_f16_e32 v12, 0xd400, v47
	v_pk_fma_f16 v75, v42, v13, v40
	v_pk_fma_f16 v76, v3, v13, v50
	v_sub_f16_e32 v13, 0xcc00, v47
	v_mul_u32_u24_e32 v78, 0x10001, v12
	v_sub_f16_e32 v12, 0xd400, v45
	v_mul_u32_u24_e32 v79, 0x10001, v13
	v_sub_f16_e32 v13, 0xcc00, v45
	v_mul_u32_u24_e32 v80, 0x10001, v12
	v_or_b32_e32 v12, 0x64006400, v48
	v_mul_u32_u24_e32 v81, 0x10001, v13
	v_or_b32_e32 v13, 0x64006400, v49
	v_pk_fma_f16 v50, v12, s18, v62 op_sel_hi:[1,0,1]
	v_or_b32_e32 v12, 0x64006400, v54
	v_pk_fma_f16 v51, v13, s19, v63 op_sel_hi:[1,0,1]
	;; [unrolled: 2-line block ×5, first 2 shown]
	v_or_b32_e32 v12, 0x64006400, v71
	s_waitcnt lgkmcnt(2)
	v_pk_fma_f16 v45, v50, v14, v74
	v_pk_fma_f16 v40, v13, s19, v79 op_sel_hi:[1,0,1]
	v_or_b32_e32 v13, 0x64006400, v72
	v_pk_fma_f16 v12, v12, s18, v80 op_sel_hi:[1,0,1]
	v_pk_fma_f16 v68, v51, v15, v45
	v_pk_fma_f16 v45, v48, v14, v75
	v_pk_fma_f16 v13, v13, s19, v81 op_sel_hi:[1,0,1]
	v_pk_fma_f16 v69, v49, v15, v45
	v_pk_fma_f16 v45, v39, v14, v76
	;; [unrolled: 1-line block ×5, first 2 shown]
	v_and_b32_e32 v14, 0x30003, v66
	v_or_b32_e32 v14, 0x64006400, v14
	v_pk_add_f16 v54, v52, v14
	v_and_b32_e32 v14, 0xc000c, v66
	v_or_b32_e32 v14, 0x64006400, v14
	v_pk_fma_f16 v57, v14, s7, v55 op_sel_hi:[1,0,1]
	v_and_b32_e32 v14, 0x30003, v67
	v_or_b32_e32 v14, 0x64006400, v14
	v_pk_add_f16 v52, v53, v14
	v_and_b32_e32 v14, 0xc000c, v67
	v_or_b32_e32 v14, 0x64006400, v14
	v_pk_fma_f16 v55, v14, s7, v59 op_sel_hi:[1,0,1]
	;; [unrolled: 6-line block ×3, first 2 shown]
	v_and_b32_e32 v14, 0x30003, v73
	v_or_b32_e32 v14, 0x64006400, v14
	v_and_b32_e32 v45, 0xc000c, v73
	s_waitcnt lgkmcnt(1)
	v_pk_fma_f16 v53, v54, v10, v68
	v_pk_add_f16 v14, v58, v14
	v_or_b32_e32 v45, 0x64006400, v45
	v_pk_fma_f16 v58, v57, v11, v53
	v_pk_fma_f16 v53, v52, v10, v69
	v_pk_fma_f16 v45, v45, s7, v61 op_sel_hi:[1,0,1]
	v_pk_fma_f16 v68, v55, v11, v53
	v_pk_fma_f16 v53, v15, v10, v71
	;; [unrolled: 1-line block ×5, first 2 shown]
	v_and_b32_e32 v10, 0x300030, v66
	v_or_b32_e32 v10, 0x64006400, v10
	v_pk_fma_f16 v60, v10, s18, v62 op_sel_hi:[1,0,1]
	v_and_b32_e32 v10, 0xc000c0, v66
	v_or_b32_e32 v10, 0x64006400, v10
	v_pk_fma_f16 v62, v10, s19, v63 op_sel_hi:[1,0,1]
	;; [unrolled: 3-line block ×5, first 2 shown]
	v_and_b32_e32 v10, 0xc000c0, v70
	v_or_b32_e32 v10, 0x64006400, v10
	ds_read2_b32 v[66:67], v46 offset0:64 offset1:65
	v_pk_fma_f16 v56, v10, s19, v79 op_sel_hi:[1,0,1]
	v_and_b32_e32 v10, 0x300030, v73
	v_or_b32_e32 v10, 0x64006400, v10
	v_and_b32_e32 v53, 0xc000c0, v73
	s_waitcnt lgkmcnt(1)
	v_pk_fma_f16 v58, v60, v16, v58
	v_pk_fma_f16 v10, v10, s18, v80 op_sel_hi:[1,0,1]
	v_or_b32_e32 v53, 0x64006400, v53
	v_pk_fma_f16 v63, v62, v17, v58
	v_pk_fma_f16 v58, v59, v16, v68
	v_pk_fma_f16 v53, v53, s19, v81 op_sel_hi:[1,0,1]
	v_pk_fma_f16 v64, v61, v17, v58
	v_pk_fma_f16 v58, v11, v16, v69
	;; [unrolled: 1-line block ×3, first 2 shown]
	ds_read2_b32 v[68:69], v46 offset0:66 offset1:67
	ds_read2_b32 v[70:71], v46 offset0:68 offset1:69
	ds_read2_b32 v[72:73], v46 offset0:70 offset1:71
	v_pk_fma_f16 v58, v56, v17, v58
	v_pk_fma_f16 v16, v53, v17, v16
	s_waitcnt lgkmcnt(3)
	v_pk_fma_f16 v17, v43, v66, 0
	v_pk_fma_f16 v65, v41, v66, 0
	;; [unrolled: 1-line block ×6, first 2 shown]
	s_waitcnt lgkmcnt(2)
	v_pk_fma_f16 v17, v50, v68, v17
	v_pk_fma_f16 v74, v3, v67, v74
	v_pk_fma_f16 v66, v1, v67, v66
	v_pk_fma_f16 v17, v51, v69, v17
	v_pk_fma_f16 v65, v48, v68, v65
	v_pk_fma_f16 v67, v39, v68, v74
	v_pk_fma_f16 v65, v49, v69, v65
	v_pk_fma_f16 v66, v12, v68, v66
	s_waitcnt lgkmcnt(1)
	v_pk_fma_f16 v17, v54, v70, v17
	v_pk_fma_f16 v67, v40, v69, v67
	;; [unrolled: 1-line block ×5, first 2 shown]
	ds_read2_b32 v[68:69], v46 offset0:128 offset1:129
	v_pk_fma_f16 v65, v55, v71, v65
	v_pk_fma_f16 v67, v15, v70, v67
	;; [unrolled: 1-line block ×3, first 2 shown]
	s_waitcnt lgkmcnt(1)
	v_pk_fma_f16 v17, v60, v72, v17
	v_pk_fma_f16 v74, v47, v71, v67
	;; [unrolled: 1-line block ×10, first 2 shown]
	ds_read2_b32 v[70:71], v46 offset0:130 offset1:131
	ds_read2_b32 v[72:73], v46 offset0:132 offset1:133
	;; [unrolled: 1-line block ×3, first 2 shown]
	s_waitcnt lgkmcnt(3)
	v_pk_fma_f16 v76, v43, v68, 0
	v_pk_fma_f16 v77, v41, v68, 0
	v_pk_fma_f16 v78, v2, v68, 0
	v_pk_fma_f16 v68, v0, v68, 0
	v_pk_fma_f16 v76, v44, v69, v76
	v_pk_fma_f16 v77, v42, v69, v77
	v_pk_fma_f16 v68, v1, v69, v68
	v_pk_fma_f16 v78, v3, v69, v78
	s_waitcnt lgkmcnt(2)
	v_pk_fma_f16 v69, v50, v70, v76
	v_pk_fma_f16 v76, v48, v70, v77
	v_pk_fma_f16 v68, v12, v70, v68
	v_pk_fma_f16 v69, v51, v71, v69
	v_pk_fma_f16 v76, v49, v71, v76
	v_pk_fma_f16 v77, v39, v70, v78
	v_pk_fma_f16 v68, v13, v71, v68
	v_pk_fma_f16 v77, v40, v71, v77
	;; [unrolled: 9-line block ×3, first 2 shown]
	s_waitcnt lgkmcnt(0)
	v_pk_fma_f16 v68, v60, v74, v69
	v_pk_fma_f16 v69, v10, v74, v72
	ds_read2_b32 v[72:73], v46 offset0:192 offset1:193
	v_pk_fma_f16 v70, v62, v75, v68
	v_pk_fma_f16 v68, v59, v74, v71
	;; [unrolled: 1-line block ×5, first 2 shown]
	s_waitcnt lgkmcnt(0)
	v_pk_fma_f16 v80, v41, v72, 0
	v_pk_fma_f16 v68, v56, v75, v68
	ds_read2_b32 v[74:75], v46 offset0:194 offset1:195
	ds_read2_b32 v[76:77], v46 offset0:196 offset1:197
	ds_read2_b32 v[78:79], v46 offset0:198 offset1:199
	v_pk_fma_f16 v46, v43, v72, 0
	v_pk_fma_f16 v80, v42, v73, v80
	v_pk_fma_f16 v46, v44, v73, v46
	v_pk_fma_f16 v81, v2, v72, 0
	v_pk_fma_f16 v72, v0, v72, 0
	s_waitcnt lgkmcnt(2)
	v_pk_fma_f16 v46, v50, v74, v46
	v_pk_fma_f16 v81, v3, v73, v81
	v_pk_fma_f16 v72, v1, v73, v72
	v_pk_fma_f16 v46, v51, v75, v46
	v_pk_fma_f16 v73, v48, v74, v80
	v_pk_fma_f16 v80, v39, v74, v81
	v_pk_fma_f16 v73, v49, v75, v73
	s_waitcnt lgkmcnt(1)
	v_pk_fma_f16 v46, v54, v76, v46
	v_pk_fma_f16 v80, v40, v75, v80
	;; [unrolled: 8-line block ×3, first 2 shown]
	v_pk_fma_f16 v75, v47, v77, v73
	v_pk_fma_f16 v73, v62, v79, v46
	;; [unrolled: 1-line block ×6, first 2 shown]
	v_mov_b32_e32 v75, s8
	v_pk_fma_f16 v72, v45, v77, v72
	ds_read2_b32 v[76:77], v75 offset1:1
	s_add_i32 s8, s2, 0x408
	v_mov_b32_e32 v75, s8
	s_add_i32 s8, s2, 0x410
	v_mov_b32_e32 v80, s8
	s_add_i32 s8, s2, 0x418
	v_pk_fma_f16 v72, v10, v78, v72
	v_mov_b32_e32 v82, s8
	v_pk_fma_f16 v46, v56, v79, v46
	v_pk_fma_f16 v72, v53, v79, v72
	ds_read2_b32 v[78:79], v75 offset1:1
	ds_read2_b32 v[80:81], v80 offset1:1
	;; [unrolled: 1-line block ×3, first 2 shown]
	s_waitcnt lgkmcnt(3)
	v_pk_fma_f16 v75, v43, v76, 0
	v_pk_fma_f16 v84, v41, v76, 0
	;; [unrolled: 1-line block ×8, first 2 shown]
	s_waitcnt lgkmcnt(2)
	v_pk_fma_f16 v77, v48, v78, v84
	v_pk_fma_f16 v76, v12, v78, v76
	;; [unrolled: 1-line block ×6, first 2 shown]
	s_waitcnt lgkmcnt(1)
	v_pk_fma_f16 v77, v52, v80, v77
	v_pk_fma_f16 v76, v14, v80, v76
	;; [unrolled: 1-line block ×7, first 2 shown]
	s_waitcnt lgkmcnt(0)
	v_pk_fma_f16 v77, v59, v82, v77
	v_pk_fma_f16 v76, v10, v82, v76
	s_add_i32 s8, s2, 0x500
	v_pk_fma_f16 v84, v61, v83, v77
	v_pk_fma_f16 v77, v11, v82, v78
	;; [unrolled: 1-line block ×3, first 2 shown]
	v_mov_b32_e32 v76, s8
	v_pk_fma_f16 v75, v51, v79, v75
	v_pk_fma_f16 v85, v56, v83, v77
	ds_read2_b32 v[76:77], v76 offset1:1
	s_add_i32 s8, s2, 0x508
	v_pk_fma_f16 v75, v54, v80, v75
	v_mov_b32_e32 v78, s8
	s_add_i32 s8, s2, 0x510
	v_pk_fma_f16 v75, v57, v81, v75
	v_mov_b32_e32 v80, s8
	;; [unrolled: 3-line block ×3, first 2 shown]
	v_pk_fma_f16 v75, v62, v83, v75
	ds_read2_b32 v[78:79], v78 offset1:1
	ds_read2_b32 v[80:81], v80 offset1:1
	;; [unrolled: 1-line block ×3, first 2 shown]
	s_waitcnt lgkmcnt(3)
	v_pk_fma_f16 v87, v43, v76, 0
	v_pk_fma_f16 v88, v41, v76, 0
	v_pk_fma_f16 v87, v44, v77, v87
	v_pk_fma_f16 v89, v2, v76, 0
	v_pk_fma_f16 v76, v0, v76, 0
	v_pk_fma_f16 v88, v42, v77, v88
	v_pk_fma_f16 v89, v3, v77, v89
	v_pk_fma_f16 v76, v1, v77, v76
	s_waitcnt lgkmcnt(2)
	v_pk_fma_f16 v77, v50, v78, v87
	v_pk_fma_f16 v87, v48, v78, v88
	;; [unrolled: 1-line block ×7, first 2 shown]
	s_waitcnt lgkmcnt(1)
	v_pk_fma_f16 v77, v54, v80, v77
	v_pk_fma_f16 v88, v40, v79, v88
	;; [unrolled: 1-line block ×8, first 2 shown]
	s_waitcnt lgkmcnt(0)
	v_pk_fma_f16 v77, v60, v82, v77
	v_pk_fma_f16 v79, v47, v81, v79
	;; [unrolled: 1-line block ×5, first 2 shown]
	s_add_i32 s8, s2, 0x600
	v_pk_fma_f16 v88, v61, v83, v77
	v_pk_fma_f16 v77, v11, v82, v79
	v_pk_fma_f16 v90, v53, v83, v76
	v_mov_b32_e32 v76, s8
	v_pk_fma_f16 v89, v56, v83, v77
	ds_read2_b32 v[76:77], v76 offset1:1
	s_add_i32 s8, s2, 0x608
	v_mov_b32_e32 v78, s8
	s_add_i32 s8, s2, 0x610
	v_mov_b32_e32 v80, s8
	s_waitcnt lgkmcnt(0)
	v_pk_fma_f16 v43, v43, v76, 0
	v_pk_fma_f16 v41, v41, v76, 0
	;; [unrolled: 1-line block ×6, first 2 shown]
	v_pack_b32_f16 v42, v63, v64
	v_perm_b32 v44, v64, v63, s20
	v_pk_fma_f16 v2, v3, v77, v2
	v_pk_fma_f16 v0, v1, v77, v0
	v_pack_b32_f16 v1, v58, v16
	v_perm_b32 v3, v16, v58, s20
	s_add_i32 s8, s2, 0x618
	v_pk_add_f16 v42, v42, v44
	v_pk_add_f16 v1, v1, v3
	v_mov_b32_e32 v82, s8
	v_pk_fma_f16 v32, v42, v6, v32
	v_pack_b32_f16 v42, v66, v67
	v_perm_b32 v44, v67, v66, s20
	v_pk_fma_f16 v30, v1, v7, v30
	v_pack_b32_f16 v1, v17, v65
	v_perm_b32 v3, v65, v17, s20
	ds_read2_b32 v[78:79], v78 offset1:1
	ds_read2_b32 v[80:81], v80 offset1:1
	;; [unrolled: 1-line block ×3, first 2 shown]
	v_pk_add_f16 v42, v42, v44
	v_pk_add_f16 v1, v1, v3
	v_pk_fma_f16 v29, v42, v6, v29
	v_pack_b32_f16 v42, v70, v71
	v_perm_b32 v44, v71, v70, s20
	v_pk_fma_f16 v28, v1, v7, v28
	v_pack_b32_f16 v1, v68, v69
	v_perm_b32 v3, v69, v68, s20
	v_pk_add_f16 v42, v42, v44
	v_pk_add_f16 v1, v1, v3
	s_waitcnt lgkmcnt(2)
	v_pk_fma_f16 v43, v50, v78, v43
	v_pk_fma_f16 v41, v48, v78, v41
	v_pk_fma_f16 v27, v42, v6, v27
	v_pack_b32_f16 v42, v73, v74
	v_perm_b32 v44, v74, v73, s20
	v_pk_fma_f16 v2, v39, v78, v2
	v_pk_fma_f16 v0, v12, v78, v0
	v_pk_fma_f16 v26, v1, v7, v26
	v_pack_b32_f16 v1, v46, v72
	v_perm_b32 v3, v72, v46, s20
	v_pk_fma_f16 v43, v51, v79, v43
	v_pk_fma_f16 v41, v49, v79, v41
	v_pk_add_f16 v42, v42, v44
	v_pk_fma_f16 v2, v40, v79, v2
	v_pk_fma_f16 v0, v13, v79, v0
	v_pk_add_f16 v1, v1, v3
	s_waitcnt lgkmcnt(1)
	v_pk_fma_f16 v43, v54, v80, v43
	v_pk_fma_f16 v41, v52, v80, v41
	v_pk_fma_f16 v25, v42, v6, v25
	v_pack_b32_f16 v42, v75, v84
	v_perm_b32 v44, v84, v75, s20
	v_pk_fma_f16 v2, v15, v80, v2
	v_pk_fma_f16 v0, v14, v80, v0
	v_pk_fma_f16 v24, v1, v7, v24
	v_pack_b32_f16 v1, v85, v86
	v_perm_b32 v3, v86, v85, s20
	v_pk_fma_f16 v43, v57, v81, v43
	v_pk_fma_f16 v41, v55, v81, v41
	v_pk_add_f16 v42, v42, v44
	v_pk_fma_f16 v2, v47, v81, v2
	v_pk_fma_f16 v0, v45, v81, v0
	;; [unrolled: 17-line block ×3, first 2 shown]
	v_pk_add_f16 v1, v1, v3
	v_pk_fma_f16 v21, v42, v6, v21
	v_pack_b32_f16 v42, v43, v41
	v_perm_b32 v41, v41, v43, s20
	v_pk_fma_f16 v20, v1, v7, v20
	v_pack_b32_f16 v1, v2, v0
	v_perm_b32 v0, v0, v2, s20
	v_pk_add_f16 v41, v42, v41
	v_pk_add_f16 v0, v1, v0
	s_add_i32 s2, s2, 32
	v_pk_fma_f16 v19, v41, v6, v19
	v_pk_fma_f16 v18, v0, v7, v18
	s_cmp_ge_i32 s24, s25
	s_cbranch_scc1 .LBB39_22
.LBB39_20:                              ; =>This Inner Loop Header: Depth=1
	s_cmp_lg_u32 s24, s21
	s_cbranch_scc1 .LBB39_19
; %bb.21:                               ;   in Loop: Header=BB39_20 Depth=1
	s_add_i32 s5, s5, 1
	s_mul_i32 s8, s5, s16
	s_ashr_i32 s9, s8, 31
	s_lshr_b32 s9, s9, 28
	s_add_i32 s9, s8, s9
	s_ashr_i32 s9, s9, 4
	v_add_u32_e32 v0, s9, v31
	v_ashrrev_i32_e32 v1, 31, v0
	v_lshl_add_u64 v[0:1], v[0:1], 2, s[10:11]
	global_load_dword v2, v[0:1], off
	v_add_u32_e32 v0, s8, v4
	v_ashrrev_i32_e32 v1, 31, v0
	v_lshl_add_u64 v[0:1], v[0:1], 1, s[12:13]
	global_load_dwordx2 v[6:7], v[0:1], off
	s_add_i32 s21, s21, s4
	s_waitcnt vmcnt(1)
	v_lshrrev_b32_e32 v0, v34, v2
	v_bfe_u32 v5, v2, v34, 2
	v_bfe_u32 v36, v0, 2, 2
	;; [unrolled: 1-line block ×4, first 2 shown]
	s_branch .LBB39_19
.LBB39_22:
	s_mul_i32 s3, s3, s16
	v_add_u32_e32 v0, s3, v4
	v_ashrrev_i32_e32 v1, 31, v0
	v_lshl_add_u64 v[2:3], v[0:1], 1, s[14:15]
	global_load_dword v5, v[2:3], off
	s_mov_b64 s[0:1], 0
.LBB39_23:                              ; =>This Inner Loop Header: Depth=1
	s_waitcnt vmcnt(0)
	v_pk_add_f16 v4, v32, v5
	global_atomic_cmpswap v1, v[2:3], v[4:5], off sc0
	s_waitcnt vmcnt(0)
	v_cmp_eq_u32_e32 vcc, v5, v1
	s_or_b64 s[0:1], vcc, s[0:1]
	v_mov_b32_e32 v5, v1
	s_andn2_b64 exec, exec, s[0:1]
	s_cbranch_execnz .LBB39_23
; %bb.24:
	s_or_b64 exec, exec, s[0:1]
	global_load_dword v5, v[2:3], off offset:4
	s_mov_b64 s[0:1], 0
.LBB39_25:                              ; =>This Inner Loop Header: Depth=1
	s_waitcnt vmcnt(0)
	v_pk_add_f16 v4, v30, v5
	global_atomic_cmpswap v1, v[2:3], v[4:5], off offset:4 sc0
	s_waitcnt vmcnt(0)
	v_cmp_eq_u32_e32 vcc, v5, v1
	s_or_b64 s[0:1], vcc, s[0:1]
	v_mov_b32_e32 v5, v1
	s_andn2_b64 exec, exec, s[0:1]
	s_cbranch_execnz .LBB39_25
; %bb.26:
	s_or_b64 exec, exec, s[0:1]
	v_add_u32_e32 v0, s16, v0
	v_ashrrev_i32_e32 v1, 31, v0
	v_lshl_add_u64 v[2:3], v[0:1], 1, s[14:15]
	global_load_dword v5, v[2:3], off
	s_mov_b64 s[0:1], 0
.LBB39_27:                              ; =>This Inner Loop Header: Depth=1
	s_waitcnt vmcnt(0)
	v_pk_add_f16 v4, v29, v5
	global_atomic_cmpswap v1, v[2:3], v[4:5], off sc0
	s_waitcnt vmcnt(0)
	v_cmp_eq_u32_e32 vcc, v5, v1
	s_or_b64 s[0:1], vcc, s[0:1]
	v_mov_b32_e32 v5, v1
	s_andn2_b64 exec, exec, s[0:1]
	s_cbranch_execnz .LBB39_27
; %bb.28:
	s_or_b64 exec, exec, s[0:1]
	global_load_dword v5, v[2:3], off offset:4
	s_mov_b64 s[0:1], 0
.LBB39_29:                              ; =>This Inner Loop Header: Depth=1
	s_waitcnt vmcnt(0)
	v_pk_add_f16 v4, v28, v5
	global_atomic_cmpswap v1, v[2:3], v[4:5], off offset:4 sc0
	s_waitcnt vmcnt(0)
	v_cmp_eq_u32_e32 vcc, v5, v1
	s_or_b64 s[0:1], vcc, s[0:1]
	v_mov_b32_e32 v5, v1
	s_andn2_b64 exec, exec, s[0:1]
	s_cbranch_execnz .LBB39_29
; %bb.30:
	s_or_b64 exec, exec, s[0:1]
	;; [unrolled: 31-line block ×6, first 2 shown]
	v_add_u32_e32 v0, s16, v0
	v_ashrrev_i32_e32 v1, 31, v0
	v_lshl_add_u64 v[0:1], v[0:1], 1, s[14:15]
	global_load_dword v3, v[0:1], off
	s_mov_b64 s[0:1], 0
.LBB39_47:                              ; =>This Inner Loop Header: Depth=1
	s_waitcnt vmcnt(0)
	v_pk_add_f16 v2, v19, v3
	global_atomic_cmpswap v2, v[0:1], v[2:3], off sc0
	s_waitcnt vmcnt(0)
	v_cmp_eq_u32_e32 vcc, v3, v2
	s_or_b64 s[0:1], vcc, s[0:1]
	v_mov_b32_e32 v3, v2
	s_andn2_b64 exec, exec, s[0:1]
	s_cbranch_execnz .LBB39_47
; %bb.48:
	s_or_b64 exec, exec, s[0:1]
	global_load_dword v3, v[0:1], off offset:4
	s_mov_b64 s[0:1], 0
.LBB39_49:                              ; =>This Inner Loop Header: Depth=1
	s_waitcnt vmcnt(0)
	v_pk_add_f16 v2, v18, v3
	global_atomic_cmpswap v2, v[0:1], v[2:3], off offset:4 sc0
	s_waitcnt vmcnt(0)
	v_cmp_eq_u32_e32 vcc, v3, v2
	s_or_b64 s[0:1], vcc, s[0:1]
	v_mov_b32_e32 v3, v2
	s_andn2_b64 exec, exec, s[0:1]
	s_cbranch_execnz .LBB39_49
.LBB39_50:
	s_endpgm
	.section	.rodata,"a",@progbits
	.p2align	6, 0x0
	.amdhsa_kernel _ZN4vllm4gptq33gemm_half_q_half_gptq_2bit_kernelILb1ELi7EEEvPK6__halfPKjS6_S4_PS2_iiiibPKi
		.amdhsa_group_segment_fixed_size 1792
		.amdhsa_private_segment_fixed_size 0
		.amdhsa_kernarg_size 72
		.amdhsa_user_sgpr_count 2
		.amdhsa_user_sgpr_dispatch_ptr 0
		.amdhsa_user_sgpr_queue_ptr 0
		.amdhsa_user_sgpr_kernarg_segment_ptr 1
		.amdhsa_user_sgpr_dispatch_id 0
		.amdhsa_user_sgpr_kernarg_preload_length 0
		.amdhsa_user_sgpr_kernarg_preload_offset 0
		.amdhsa_user_sgpr_private_segment_size 0
		.amdhsa_uses_dynamic_stack 0
		.amdhsa_enable_private_segment 0
		.amdhsa_system_sgpr_workgroup_id_x 1
		.amdhsa_system_sgpr_workgroup_id_y 1
		.amdhsa_system_sgpr_workgroup_id_z 1
		.amdhsa_system_sgpr_workgroup_info 0
		.amdhsa_system_vgpr_workitem_id 0
		.amdhsa_next_free_vgpr 91
		.amdhsa_next_free_sgpr 26
		.amdhsa_accum_offset 92
		.amdhsa_reserve_vcc 1
		.amdhsa_float_round_mode_32 0
		.amdhsa_float_round_mode_16_64 0
		.amdhsa_float_denorm_mode_32 3
		.amdhsa_float_denorm_mode_16_64 3
		.amdhsa_dx10_clamp 1
		.amdhsa_ieee_mode 1
		.amdhsa_fp16_overflow 0
		.amdhsa_tg_split 0
		.amdhsa_exception_fp_ieee_invalid_op 0
		.amdhsa_exception_fp_denorm_src 0
		.amdhsa_exception_fp_ieee_div_zero 0
		.amdhsa_exception_fp_ieee_overflow 0
		.amdhsa_exception_fp_ieee_underflow 0
		.amdhsa_exception_fp_ieee_inexact 0
		.amdhsa_exception_int_div_zero 0
	.end_amdhsa_kernel
	.section	.text._ZN4vllm4gptq33gemm_half_q_half_gptq_2bit_kernelILb1ELi7EEEvPK6__halfPKjS6_S4_PS2_iiiibPKi,"axG",@progbits,_ZN4vllm4gptq33gemm_half_q_half_gptq_2bit_kernelILb1ELi7EEEvPK6__halfPKjS6_S4_PS2_iiiibPKi,comdat
.Lfunc_end39:
	.size	_ZN4vllm4gptq33gemm_half_q_half_gptq_2bit_kernelILb1ELi7EEEvPK6__halfPKjS6_S4_PS2_iiiibPKi, .Lfunc_end39-_ZN4vllm4gptq33gemm_half_q_half_gptq_2bit_kernelILb1ELi7EEEvPK6__halfPKjS6_S4_PS2_iiiibPKi
                                        ; -- End function
	.set _ZN4vllm4gptq33gemm_half_q_half_gptq_2bit_kernelILb1ELi7EEEvPK6__halfPKjS6_S4_PS2_iiiibPKi.num_vgpr, 91
	.set _ZN4vllm4gptq33gemm_half_q_half_gptq_2bit_kernelILb1ELi7EEEvPK6__halfPKjS6_S4_PS2_iiiibPKi.num_agpr, 0
	.set _ZN4vllm4gptq33gemm_half_q_half_gptq_2bit_kernelILb1ELi7EEEvPK6__halfPKjS6_S4_PS2_iiiibPKi.numbered_sgpr, 26
	.set _ZN4vllm4gptq33gemm_half_q_half_gptq_2bit_kernelILb1ELi7EEEvPK6__halfPKjS6_S4_PS2_iiiibPKi.num_named_barrier, 0
	.set _ZN4vllm4gptq33gemm_half_q_half_gptq_2bit_kernelILb1ELi7EEEvPK6__halfPKjS6_S4_PS2_iiiibPKi.private_seg_size, 0
	.set _ZN4vllm4gptq33gemm_half_q_half_gptq_2bit_kernelILb1ELi7EEEvPK6__halfPKjS6_S4_PS2_iiiibPKi.uses_vcc, 1
	.set _ZN4vllm4gptq33gemm_half_q_half_gptq_2bit_kernelILb1ELi7EEEvPK6__halfPKjS6_S4_PS2_iiiibPKi.uses_flat_scratch, 0
	.set _ZN4vllm4gptq33gemm_half_q_half_gptq_2bit_kernelILb1ELi7EEEvPK6__halfPKjS6_S4_PS2_iiiibPKi.has_dyn_sized_stack, 0
	.set _ZN4vllm4gptq33gemm_half_q_half_gptq_2bit_kernelILb1ELi7EEEvPK6__halfPKjS6_S4_PS2_iiiibPKi.has_recursion, 0
	.set _ZN4vllm4gptq33gemm_half_q_half_gptq_2bit_kernelILb1ELi7EEEvPK6__halfPKjS6_S4_PS2_iiiibPKi.has_indirect_call, 0
	.section	.AMDGPU.csdata,"",@progbits
; Kernel info:
; codeLenInByte = 6196
; TotalNumSgprs: 32
; NumVgprs: 91
; NumAgprs: 0
; TotalNumVgprs: 91
; ScratchSize: 0
; MemoryBound: 0
; FloatMode: 240
; IeeeMode: 1
; LDSByteSize: 1792 bytes/workgroup (compile time only)
; SGPRBlocks: 3
; VGPRBlocks: 11
; NumSGPRsForWavesPerEU: 32
; NumVGPRsForWavesPerEU: 91
; AccumOffset: 92
; Occupancy: 5
; WaveLimiterHint : 0
; COMPUTE_PGM_RSRC2:SCRATCH_EN: 0
; COMPUTE_PGM_RSRC2:USER_SGPR: 2
; COMPUTE_PGM_RSRC2:TRAP_HANDLER: 0
; COMPUTE_PGM_RSRC2:TGID_X_EN: 1
; COMPUTE_PGM_RSRC2:TGID_Y_EN: 1
; COMPUTE_PGM_RSRC2:TGID_Z_EN: 1
; COMPUTE_PGM_RSRC2:TIDIG_COMP_CNT: 0
; COMPUTE_PGM_RSRC3_GFX90A:ACCUM_OFFSET: 22
; COMPUTE_PGM_RSRC3_GFX90A:TG_SPLIT: 0
	.section	.text._ZN4vllm4gptq33gemm_half_q_half_gptq_3bit_kernelILb1ELi7EEEvPK6__halfPKjS6_S4_PS2_iiiibPKi,"axG",@progbits,_ZN4vllm4gptq33gemm_half_q_half_gptq_3bit_kernelILb1ELi7EEEvPK6__halfPKjS6_S4_PS2_iiiibPKi,comdat
	.protected	_ZN4vllm4gptq33gemm_half_q_half_gptq_3bit_kernelILb1ELi7EEEvPK6__halfPKjS6_S4_PS2_iiiibPKi ; -- Begin function _ZN4vllm4gptq33gemm_half_q_half_gptq_3bit_kernelILb1ELi7EEEvPK6__halfPKjS6_S4_PS2_iiiibPKi
	.globl	_ZN4vllm4gptq33gemm_half_q_half_gptq_3bit_kernelILb1ELi7EEEvPK6__halfPKjS6_S4_PS2_iiiibPKi
	.p2align	8
	.type	_ZN4vllm4gptq33gemm_half_q_half_gptq_3bit_kernelILb1ELi7EEEvPK6__halfPKjS6_S4_PS2_iiiibPKi,@function
_ZN4vllm4gptq33gemm_half_q_half_gptq_3bit_kernelILb1ELi7EEEvPK6__halfPKjS6_S4_PS2_iiiibPKi: ; @_ZN4vllm4gptq33gemm_half_q_half_gptq_3bit_kernelILb1ELi7EEEvPK6__halfPKjS6_S4_PS2_iiiibPKi
; %bb.0:
	s_load_dwordx8 s[8:15], s[0:1], 0x8
	s_load_dwordx4 s[16:19], s[0:1], 0x2c
	s_lshl_b32 s27, s4, 7
	s_mul_i32 s26, s3, 7
	s_add_i32 s3, s27, 0x80
	v_cvt_f64_u32_e32 v[2:3], s3
	s_waitcnt lgkmcnt(0)
	v_cvt_f64_i32_e32 v[4:5], s17
	v_min_f64 v[2:3], v[2:3], v[4:5]
	v_cvt_i32_f64_e32 v1, v[2:3]
	v_add_u32_e32 v2, s27, v0
	v_readfirstlane_b32 s28, v1
	v_cmp_lt_u32_e32 vcc, v2, v1
	s_and_saveexec_b64 s[4:5], vcc
	s_cbranch_execz .LBB40_16
; %bb.1:
	s_load_dwordx2 s[22:23], s[0:1], 0x40
	s_load_dwordx2 s[6:7], s[0:1], 0x0
	v_mov_b32_e32 v3, 0
	v_mov_b64_e32 v[6:7], v[2:3]
	s_waitcnt lgkmcnt(0)
	s_cmp_lg_u64 s[22:23], 0
	s_cselect_b64 s[20:21], -1, 0
	s_cmp_eq_u64 s[22:23], 0
	v_lshl_add_u64 v[4:5], v[2:3], 2, s[22:23]
	s_cbranch_scc1 .LBB40_3
; %bb.2:
	global_load_dword v6, v[4:5], off
	s_waitcnt vmcnt(0)
	v_ashrrev_i32_e32 v7, 31, v6
.LBB40_3:
	s_mul_i32 s22, s26, s17
	s_ashr_i32 s23, s22, 31
	s_lshl_b64 s[0:1], s[22:23], 1
	s_add_u32 s0, s6, s0
	s_addc_u32 s1, s7, s1
	v_lshl_add_u64 v[6:7], v[6:7], 1, s[0:1]
	global_load_ushort v6, v[6:7], off
	v_lshlrev_b32_e32 v1, 1, v0
	v_cndmask_b32_e64 v7, 0, 1, s[20:21]
	v_cmp_ne_u32_e64 s[0:1], 1, v7
	s_andn2_b64 vcc, exec, s[20:21]
	s_waitcnt vmcnt(0)
	ds_write_b16 v1, v6
	v_mov_b64_e32 v[6:7], v[2:3]
	s_cbranch_vccnz .LBB40_5
; %bb.4:
	global_load_dword v6, v[4:5], off
	s_waitcnt vmcnt(0)
	v_ashrrev_i32_e32 v7, 31, v6
.LBB40_5:
	s_add_i32 s20, s22, s17
	s_ashr_i32 s21, s20, 31
	s_lshl_b64 s[22:23], s[20:21], 1
	s_add_u32 s22, s6, s22
	s_addc_u32 s23, s7, s23
	v_lshl_add_u64 v[6:7], v[6:7], 1, s[22:23]
	global_load_ushort v6, v[6:7], off
	s_and_b64 vcc, exec, s[0:1]
	s_waitcnt vmcnt(0)
	ds_write_b16 v1, v6 offset:256
	v_mov_b64_e32 v[6:7], v[2:3]
	s_cbranch_vccnz .LBB40_7
; %bb.6:
	global_load_dword v6, v[4:5], off
	s_waitcnt vmcnt(0)
	v_ashrrev_i32_e32 v7, 31, v6
.LBB40_7:
	s_add_i32 s20, s20, s17
	s_ashr_i32 s21, s20, 31
	s_lshl_b64 s[22:23], s[20:21], 1
	s_add_u32 s22, s6, s22
	s_addc_u32 s23, s7, s23
	v_lshl_add_u64 v[6:7], v[6:7], 1, s[22:23]
	global_load_ushort v6, v[6:7], off
	s_and_b64 vcc, exec, s[0:1]
	s_waitcnt vmcnt(0)
	ds_write_b16 v1, v6 offset:512
	;; [unrolled: 17-line block ×5, first 2 shown]
	s_cbranch_vccnz .LBB40_15
; %bb.14:
	global_load_dword v2, v[4:5], off
	s_waitcnt vmcnt(0)
	v_ashrrev_i32_e32 v3, 31, v2
.LBB40_15:
	s_add_i32 s0, s20, s17
	s_ashr_i32 s1, s0, 31
	s_lshl_b64 s[0:1], s[0:1], 1
	s_add_u32 s0, s6, s0
	s_addc_u32 s1, s7, s1
	v_lshl_add_u64 v[2:3], v[2:3], 1, s[0:1]
	global_load_ushort v2, v[2:3], off
	s_waitcnt vmcnt(0)
	ds_write_b16 v1, v2 offset:1536
.LBB40_16:
	s_or_b64 exec, exec, s[4:5]
	v_lshlrev_b32_e32 v0, 2, v0
	v_lshl_add_u32 v4, s2, 9, v0
	v_mov_b32_e32 v2, v4
	v_cmp_gt_i32_e32 vcc, s16, v4
	scratch_store_dwordx2 off, v[2:3], off  ; 8-byte Folded Spill
	s_and_saveexec_b64 s[0:1], vcc
	s_cbranch_execz .LBB40_82
; %bb.17:
	s_abs_i32 s0, s18
	v_cvt_f32_u32_e32 v1, s0
	s_sub_i32 s3, 0, s0
	s_abs_i32 s2, s17
	s_xor_b32 s1, s17, s18
	v_rcp_iflag_f32_e32 v1, v1
	s_ashr_i32 s1, s1, 31
	v_and_b32_e32 v2, 28, v0
	v_cmp_lt_u32_e32 vcc, 4, v2
	v_mul_f32_e32 v1, 0x4f7ffffe, v1
	v_cvt_u32_f32_e32 v1, v1
	s_waitcnt lgkmcnt(0)
	s_barrier
	v_readfirstlane_b32 s4, v1
	s_mul_i32 s3, s3, s4
	s_mul_hi_u32 s3, s4, s3
	s_add_i32 s4, s4, s3
	s_mul_hi_u32 s3, s2, s4
	s_mul_i32 s4, s3, s0
	s_sub_i32 s2, s2, s4
	s_add_i32 s5, s3, 1
	s_sub_i32 s4, s2, s0
	s_cmp_ge_u32 s2, s0
	s_cselect_b32 s3, s5, s3
	s_cselect_b32 s2, s4, s2
	s_add_i32 s4, s3, 1
	s_cmp_ge_u32 s2, s0
	s_cselect_b32 s0, s4, s3
	s_xor_b32 s0, s0, s1
	s_sub_i32 s29, s0, s1
	v_cvt_f32_u32_e32 v1, s29
	s_sub_i32 s0, 0, s29
                                        ; implicit-def: $vgpr3
                                        ; implicit-def: $vgpr0
	v_rcp_iflag_f32_e32 v1, v1
	s_nop 0
	v_mul_f32_e32 v1, 0x4f7ffffe, v1
	v_cvt_u32_f32_e32 v1, v1
	s_nop 0
	v_readfirstlane_b32 s1, v1
	s_mul_i32 s0, s0, s1
	s_mul_hi_u32 s0, s1, s0
	s_add_i32 s1, s1, s0
	s_mul_hi_u32 s0, s27, s1
	s_mul_i32 s1, s0, s29
	s_sub_i32 s1, s27, s1
	s_add_i32 s2, s0, 1
	s_sub_i32 s3, s1, s29
	s_cmp_ge_u32 s1, s29
	s_cselect_b32 s0, s2, s0
	s_cselect_b32 s1, s3, s1
	s_add_i32 s2, s0, 1
	s_cmp_ge_u32 s1, s29
	s_cselect_b32 s30, s2, s0
	s_and_saveexec_b64 s[0:1], vcc
	s_xor_b64 s[2:3], exec, s[0:1]
	s_cbranch_execz .LBB40_31
; %bb.18:
	v_cmp_ne_u32_e64 s[0:1], 8, v2
                                        ; implicit-def: $vgpr3
                                        ; implicit-def: $vgpr0
	s_and_saveexec_b64 s[4:5], s[0:1]
	s_xor_b64 s[4:5], exec, s[4:5]
	s_cbranch_execz .LBB40_28
; %bb.19:
	v_cmp_lt_u32_e64 s[0:1], 16, v2
                                        ; implicit-def: $vgpr3
                                        ; implicit-def: $vgpr0
	s_and_saveexec_b64 s[6:7], s[0:1]
	s_xor_b64 s[6:7], exec, s[6:7]
	s_cbranch_execz .LBB40_25
; %bb.20:
	scratch_load_dwordx2 v[0:1], off, off   ; 8-byte Folded Reload
	s_mul_i32 s17, s30, s16
	s_ashr_i32 s0, s17, 31
	s_lshr_b32 s0, s0, 27
	s_add_i32 s0, s17, s0
	s_ashr_i32 s0, s0, 5
                                        ; implicit-def: $vgpr3
	s_waitcnt vmcnt(0)
	v_lshl_add_u32 v0, v0, 1, v0
	v_ashrrev_i32_e32 v1, 31, v0
	v_lshrrev_b32_e32 v1, 27, v1
	v_add_u32_e32 v0, v0, v1
	v_ashrrev_i32_e32 v0, 5, v0
	v_mad_u64_u32 v[0:1], s[0:1], s0, 3, v[0:1]
	v_ashrrev_i32_e32 v1, 31, v0
	v_lshl_add_u64 v[0:1], v[0:1], 2, s[10:11]
	global_load_dword v4, v[0:1], off
	v_cmp_ne_u32_e64 s[0:1], 20, v2
	s_and_saveexec_b64 s[20:21], s[0:1]
	s_xor_b64 s[0:1], exec, s[20:21]
	s_cbranch_execz .LBB40_22
; %bb.21:
	v_not_b32_e32 v0, 63
	v_mad_u32_u24 v0, v2, 3, v0
	s_waitcnt vmcnt(0)
	v_lshrrev_b32_e32 v3, v0, v4
                                        ; implicit-def: $vgpr0_vgpr1
                                        ; implicit-def: $vgpr4
.LBB40_22:
	s_andn2_saveexec_b64 s[0:1], s[0:1]
	s_cbranch_execz .LBB40_24
; %bb.23:
	global_load_dword v0, v[0:1], off offset:4
	s_waitcnt vmcnt(0)
	v_alignbit_b32 v0, v0, v4, 28
	v_and_b32_e32 v3, 0xfff, v0
.LBB40_24:
	s_or_b64 exec, exec, s[0:1]
	v_mov_b32_e32 v0, s17
.LBB40_25:
	s_andn2_saveexec_b64 s[0:1], s[6:7]
	s_cbranch_execz .LBB40_27
; %bb.26:
	scratch_load_dwordx2 v[0:1], off, off   ; 8-byte Folded Reload
	s_mul_i32 s17, s30, s16
	s_ashr_i32 s6, s17, 31
	s_lshr_b32 s6, s6, 27
	s_add_i32 s6, s17, s6
	s_ashr_i32 s6, s6, 5
	s_waitcnt vmcnt(0)
	v_lshl_add_u32 v0, v0, 1, v0
	v_ashrrev_i32_e32 v1, 31, v0
	v_lshrrev_b32_e32 v1, 27, v1
	v_add_u32_e32 v0, v0, v1
	v_ashrrev_i32_e32 v0, 5, v0
	v_mad_u64_u32 v[0:1], s[6:7], s6, 3, v[0:1]
	v_ashrrev_i32_e32 v1, 31, v0
	v_lshl_add_u64 v[0:1], v[0:1], 2, s[10:11]
	global_load_dword v0, v[0:1], off
	v_not_b32_e32 v1, 31
	v_mad_u32_u24 v1, v2, 3, v1
	s_waitcnt vmcnt(0)
	v_lshrrev_b32_e32 v3, v1, v0
	v_mov_b32_e32 v0, s17
.LBB40_27:
	s_or_b64 exec, exec, s[0:1]
.LBB40_28:
	s_andn2_saveexec_b64 s[0:1], s[4:5]
	s_cbranch_execz .LBB40_30
; %bb.29:
	scratch_load_dwordx2 v[0:1], off, off   ; 8-byte Folded Reload
	s_mul_i32 s6, s30, s16
	s_ashr_i32 s4, s6, 31
	s_lshr_b32 s4, s4, 27
	s_add_i32 s4, s6, s4
	s_ashr_i32 s4, s4, 5
	s_waitcnt vmcnt(0)
	v_lshl_add_u32 v0, v0, 1, v0
	v_ashrrev_i32_e32 v1, 31, v0
	v_lshrrev_b32_e32 v1, 27, v1
	v_add_u32_e32 v0, v0, v1
	v_ashrrev_i32_e32 v0, 5, v0
	v_mad_u64_u32 v[0:1], s[4:5], s4, 3, v[0:1]
	v_ashrrev_i32_e32 v1, 31, v0
	v_lshl_add_u64 v[0:1], v[0:1], 2, s[10:11]
	global_load_dwordx2 v[0:1], v[0:1], off
	s_mov_b32 s4, 0x2010007
	s_waitcnt vmcnt(0)
	v_perm_b32 v0, v0, v1, s4
	v_and_b32_e32 v3, 0xfff, v0
	v_mov_b32_e32 v0, s6
.LBB40_30:
	s_or_b64 exec, exec, s[0:1]
.LBB40_31:
	s_or_saveexec_b64 s[0:1], s[2:3]
	scratch_load_dwordx2 v[4:5], off, off   ; 8-byte Folded Reload
	s_waitcnt vmcnt(0)
	v_mul_u32_u24_e32 v5, 3, v2
	scratch_store_dword off, v5, off offset:16 ; 4-byte Folded Spill
	v_lshl_add_u32 v1, v4, 1, v4
	v_ashrrev_i32_e32 v4, 31, v1
	s_xor_b64 exec, exec, s[0:1]
	s_cbranch_execz .LBB40_33
; %bb.32:
	s_mul_i32 s4, s30, s16
	s_ashr_i32 s2, s4, 31
	s_lshr_b32 s2, s2, 27
	v_lshrrev_b32_e32 v0, 27, v4
	s_add_i32 s2, s4, s2
	v_add_u32_e32 v0, v1, v0
	s_ashr_i32 s2, s2, 5
	v_ashrrev_i32_e32 v0, 5, v0
	v_mad_u64_u32 v[6:7], s[2:3], s2, 3, v[0:1]
	v_ashrrev_i32_e32 v7, 31, v6
	v_lshl_add_u64 v[6:7], v[6:7], 2, s[10:11]
	global_load_dword v0, v[6:7], off
	v_mul_u32_u24_e32 v3, 3, v2
	s_waitcnt vmcnt(0)
	v_lshrrev_b32_e32 v3, v3, v0
	v_mov_b32_e32 v0, s4
.LBB40_33:
	s_or_b64 exec, exec, s[0:1]
	s_mov_b32 s31, 0
	v_mov_b32_e32 v36, 0
	s_cmp_ge_i32 s27, s28
	v_mov_b32_e32 v35, 0
	v_mov_b32_e32 v34, 0
	;; [unrolled: 1-line block ×13, first 2 shown]
	s_cbranch_scc1 .LBB40_54
; %bb.34:
	scratch_load_dwordx2 v[6:7], off, off   ; 8-byte Folded Reload
	s_lshr_b32 s0, s27, 5
	s_mul_i32 s0, s0, s16
	s_mul_i32 s6, s0, 3
	s_add_i32 s33, s29, s27
	s_ashr_i32 s7, s6, 31
	s_bitcmp1_b32 s19, 0
	s_cselect_b64 s[0:1], -1, 0
	s_xor_b64 s[0:1], s[0:1], -1
	s_ashr_i32 s17, s16, 31
	s_lshl_b64 s[6:7], s[6:7], 2
	s_add_u32 s6, s8, s6
	s_addc_u32 s7, s9, s7
	v_cndmask_b32_e64 v37, 0, 1, s[0:1]
	v_bfe_u32 v41, v3, 9, 3
	v_bfe_u32 v42, v3, 6, 3
	;; [unrolled: 1-line block ×3, first 2 shown]
	v_and_b32_e32 v44, 7, v3
	v_cmp_ne_u32_e64 s[0:1], 8, v2
	v_cmp_lt_u32_e64 s[2:3], 16, v2
	v_cmp_ne_u32_e64 s[4:5], 20, v2
	s_lshl_b64 s[8:9], s[16:17], 2
	v_mov_b32_e32 v13, 0
	s_mov_b32 s17, 0x2010007
	s_mov_b32 s34, 0x10001
	;; [unrolled: 1-line block ×3, first 2 shown]
	s_movk_i32 s36, 0x3000
	s_movk_i32 s37, 0x2400
	s_mov_b32 s38, 0x7060302
	v_mov_b32_e32 v40, 0xe400e400
	v_mov_b32_e32 v15, 0
	v_mov_b32_e32 v24, 0
	v_mov_b32_e32 v25, 0
	v_mov_b32_e32 v26, 0
	v_mov_b32_e32 v27, 0
	v_mov_b32_e32 v28, 0
	v_mov_b32_e32 v29, 0
	v_mov_b32_e32 v30, 0
	v_mov_b32_e32 v31, 0
	v_mov_b32_e32 v32, 0
	v_mov_b32_e32 v34, 0
	v_mov_b32_e32 v35, 0
	v_mov_b32_e32 v36, 0
	s_waitcnt vmcnt(0)
	v_mov_b32_e32 v8, v6
	v_add_u32_e32 v6, v0, v8
	v_ashrrev_i32_e32 v7, 31, v6
	v_lshl_add_u64 v[6:7], v[6:7], 1, s[12:13]
	global_load_dwordx2 v[18:19], v[6:7], off
	v_lshrrev_b32_e32 v0, 27, v4
	v_add_u32_e32 v0, v1, v0
	v_ashrrev_i32_e32 v0, 5, v0
	scratch_store_dwordx2 off, v[0:1], off offset:8 ; 8-byte Folded Spill
	v_not_b32_e32 v0, 63
	v_mad_u32_u24 v0, v2, 3, v0
	scratch_store_dword off, v0, off offset:24 ; 4-byte Folded Spill
	v_not_b32_e32 v0, 31
	v_ashrrev_i32_e32 v9, 31, v8
	v_mad_u32_u24 v0, v2, 3, v0
	scratch_store_dword off, v0, off offset:20 ; 4-byte Folded Spill
	v_mov_b32_e32 v0, v8
	v_lshl_add_u64 v[16:17], v[8:9], 2, s[6:7]
	s_mul_hi_i32 s7, s16, 12
	s_mul_i32 s6, s16, 12
	scratch_store_dwordx2 off, v[0:1], off  ; 8-byte Folded Spill
	s_branch .LBB40_37
.LBB40_35:                              ;   in Loop: Header=BB40_37 Depth=1
	s_or_b64 exec, exec, s[18:19]
	scratch_load_dwordx2 v[0:1], off, off   ; 8-byte Folded Reload
	s_add_i32 s33, s33, s29
	v_and_b32_e32 v44, 7, v2
	v_bfe_u32 v43, v2, 3, 3
	v_bfe_u32 v42, v2, 6, 3
	;; [unrolled: 1-line block ×3, first 2 shown]
	s_waitcnt vmcnt(0)
	v_add_u32_e32 v0, s39, v0
	v_ashrrev_i32_e32 v1, 31, v0
	v_lshl_add_u64 v[0:1], v[0:1], 1, s[12:13]
	global_load_dwordx2 v[18:19], v[0:1], off
.LBB40_36:                              ;   in Loop: Header=BB40_37 Depth=1
	v_lshl_add_u64 v[0:1], v[16:17], 0, s[8:9]
	global_load_dwordx4 v[8:11], v[16:17], off
	global_load_dwordx4 v[4:7], v[0:1], off
	v_lshl_add_u64 v[0:1], v[0:1], 0, s[8:9]
	global_load_dwordx4 v[0:3], v[0:1], off
	v_add_u32_e32 v20, v44, v37
	v_add_u32_e32 v21, v43, v37
	;; [unrolled: 1-line block ×4, first 2 shown]
	v_cvt_f32_u32_e32 v38, v20
	v_cvt_f32_u32_e32 v45, v21
	v_mad_u32_u24 v46, v21, s34, v40
	v_cvt_f32_u32_e32 v21, v22
	v_mad_u32_u24 v23, v22, s34, v40
	;; [unrolled: 2-line block ×3, first 2 shown]
	v_mad_u32_u24 v20, v33, s34, v40
	v_cvt_f16_f32_e32 v33, v38
	v_cvt_f16_f32_e32 v38, v45
	;; [unrolled: 1-line block ×4, first 2 shown]
	v_sub_f16_e32 v45, 0xd800, v33
	v_sub_f16_e32 v33, 0xcc00, v33
	;; [unrolled: 1-line block ×7, first 2 shown]
	v_mul_u32_u24_e32 v50, 0x10001, v33
	v_mul_u32_u24_e32 v51, 0x10001, v38
	;; [unrolled: 1-line block ×7, first 2 shown]
	v_sub_f16_e32 v22, 0xcc00, v22
	v_mul_u32_u24_e32 v22, 0x10001, v22
	s_add_i32 s18, s31, 0x400
	s_add_i32 s27, s27, 32
	v_lshl_add_u64 v[16:17], v[16:17], 0, s[6:7]
	s_waitcnt vmcnt(2)
	v_and_b32_e32 v48, 0x70007, v8
	v_and_b32_e32 v49, 0x380038, v8
	v_lshrrev_b32_e32 v52, 6, v8
	s_waitcnt vmcnt(1)
	v_lshrrev_b32_e32 v57, 6, v4
	v_or_b32_e32 v48, 0x64006400, v48
	v_or_b32_e32 v49, 0x64006400, v49
	v_and_b32_e32 v53, 0x70007, v52
	v_and_b32_e32 v55, 0x70007, v4
	;; [unrolled: 1-line block ×3, first 2 shown]
	v_lshrrev_b32_e32 v4, 14, v4
	v_and_b32_e32 v58, 0x70007, v57
	v_and_b32_e32 v59, 0x380038, v57
	s_waitcnt vmcnt(0)
	v_and_b32_e32 v60, 0x70007, v0
	v_and_b32_e32 v61, 0x380038, v0
	v_lshrrev_b32_e32 v62, 6, v0
	v_lshrrev_b32_e32 v8, 15, v8
	v_and_b32_e32 v54, 0x380038, v52
	v_and_b32_e32 v52, 0x1c001c0, v52
	v_or_b32_e32 v53, 0x64006400, v53
	v_and_b32_e32 v57, 0x1c001c0, v57
	v_and_b32_e32 v4, 0x20002, v4
	v_lshrrev_b32_e32 v0, 13, v0
	v_pk_add_f16 v71, v39, v48
	v_pk_fma_f16 v72, v49, s36, v45 op_sel_hi:[1,0,1]
	v_or_b32_e32 v48, 0x64006400, v58
	v_or_b32_e32 v49, 0x64006400, v59
	;; [unrolled: 1-line block ×4, first 2 shown]
	v_and_b32_e32 v60, 0x70007, v62
	v_and_b32_e32 v61, 0x380038, v62
	;; [unrolled: 1-line block ×3, first 2 shown]
	v_or_b32_e32 v52, 0x64006400, v52
	v_or_b32_e32 v57, 0x64006400, v57
	v_and_b32_e32 v0, 0x40004, v0
	v_and_or_b32 v4, v8, s34, v4
	v_pk_add_f16 v74, v39, v53
	v_or_b32_e32 v53, 0x64006400, v62
	v_or_b32_e32 v54, 0x64006400, v54
	;; [unrolled: 1-line block ×4, first 2 shown]
	v_pk_fma_f16 v67, v52, s37, v50 op_sel_hi:[1,0,1]
	v_or_b32_e32 v8, 0x64006400, v60
	v_or_b32_e32 v52, 0x64006400, v61
	v_or3_b32 v0, v4, v0, s35
	v_pk_add_f16 v70, v39, v48
	v_pk_fma_f16 v64, v49, s36, v45 op_sel_hi:[1,0,1]
	v_pk_fma_f16 v65, v57, s37, v50 op_sel_hi:[1,0,1]
	;; [unrolled: 1-line block ×3, first 2 shown]
	v_and_b32_e32 v48, 0x70007, v5
	v_and_b32_e32 v49, 0x380038, v5
	v_lshrrev_b32_e32 v50, 6, v5
	v_lshrrev_b32_e32 v5, 14, v5
	v_pk_fma_f16 v73, v54, s36, v45 op_sel_hi:[1,0,1]
	v_pk_add_f16 v68, v39, v55
	v_pk_fma_f16 v69, v56, s36, v45 op_sel_hi:[1,0,1]
	v_pk_fma_f16 v63, v59, s36, v45 op_sel_hi:[1,0,1]
	v_pk_add_f16 v59, v39, v8
	v_pk_add_f16 v62, v39, v0
	v_and_b32_e32 v0, 0x70007, v9
	v_and_b32_e32 v4, 0x380038, v9
	v_lshrrev_b32_e32 v8, 6, v9
	v_lshrrev_b32_e32 v9, 15, v9
	v_and_b32_e32 v5, 0x20002, v5
	v_and_b32_e32 v54, 0x70007, v1
	;; [unrolled: 1-line block ×3, first 2 shown]
	v_lshrrev_b32_e32 v56, 6, v1
	v_lshrrev_b32_e32 v1, 13, v1
	v_pk_add_f16 v66, v39, v58
	v_pk_fma_f16 v60, v52, s36, v45 op_sel_hi:[1,0,1]
	v_and_b32_e32 v39, 0x70007, v8
	v_and_b32_e32 v45, 0x380038, v8
	;; [unrolled: 1-line block ×3, first 2 shown]
	v_and_or_b32 v5, v9, s34, v5
	v_or_b32_e32 v0, 0x64006400, v0
	v_or_b32_e32 v4, 0x64006400, v4
	v_or_b32_e32 v39, 0x64006400, v39
	v_or_b32_e32 v45, 0x64006400, v45
	v_and_b32_e32 v52, 0x70007, v50
	v_and_b32_e32 v53, 0x380038, v50
	;; [unrolled: 1-line block ×3, first 2 shown]
	v_or3_b32 v1, v5, v1, s35
	v_and_b32_e32 v8, 0x1c001c0, v8
	v_or_b32_e32 v48, 0x64006400, v48
	v_or_b32_e32 v49, 0x64006400, v49
	;; [unrolled: 1-line block ×3, first 2 shown]
	v_and_b32_e32 v57, 0x70007, v56
	v_and_b32_e32 v58, 0x380038, v56
	;; [unrolled: 1-line block ×3, first 2 shown]
	v_pk_add_f16 v75, v46, v0
	v_pk_fma_f16 v76, v4, s36, v47 op_sel_hi:[1,0,1]
	v_pk_add_f16 v77, v46, v39
	v_pk_fma_f16 v78, v45, s36, v47 op_sel_hi:[1,0,1]
	v_pk_add_f16 v90, v46, v1
	v_and_b32_e32 v0, 0x70007, v10
	v_and_b32_e32 v1, 0x380038, v10
	v_lshrrev_b32_e32 v4, 6, v10
	v_lshrrev_b32_e32 v9, 15, v10
	v_and_b32_e32 v10, 0x70007, v6
	v_and_b32_e32 v39, 0x380038, v6
	v_lshrrev_b32_e32 v45, 6, v6
	v_lshrrev_b32_e32 v6, 14, v6
	v_or_b32_e32 v8, 0x64006400, v8
	v_or_b32_e32 v52, 0x64006400, v52
	;; [unrolled: 1-line block ×5, first 2 shown]
	v_pk_add_f16 v80, v46, v48
	v_pk_fma_f16 v81, v49, s36, v47 op_sel_hi:[1,0,1]
	v_pk_fma_f16 v84, v50, s37, v51 op_sel_hi:[1,0,1]
	v_and_b32_e32 v6, 0x20002, v6
	v_and_b32_e32 v48, 0x70007, v2
	;; [unrolled: 1-line block ×3, first 2 shown]
	v_lshrrev_b32_e32 v50, 6, v2
	v_lshrrev_b32_e32 v2, 13, v2
	v_pk_fma_f16 v79, v8, s37, v51 op_sel_hi:[1,0,1]
	v_pk_add_f16 v82, v46, v52
	v_pk_add_f16 v85, v46, v54
	;; [unrolled: 1-line block ×3, first 2 shown]
	v_pk_fma_f16 v89, v56, s37, v51 op_sel_hi:[1,0,1]
	v_and_b32_e32 v5, 0x70007, v4
	v_or_b32_e32 v10, 0x64006400, v10
	v_and_b32_e32 v46, 0x70007, v45
	v_and_b32_e32 v51, 0x70007, v50
	;; [unrolled: 1-line block ×3, first 2 shown]
	v_and_or_b32 v6, v9, s34, v6
	v_or_b32_e32 v0, 0x64006400, v0
	v_or_b32_e32 v1, 0x64006400, v1
	;; [unrolled: 1-line block ×6, first 2 shown]
	v_or3_b32 v2, v6, v2, s35
	v_pk_add_f16 v97, v23, v10
	v_lshrrev_b32_e32 v10, 6, v7
	v_or_b32_e32 v53, 0x64006400, v53
	v_or_b32_e32 v55, 0x64006400, v55
	;; [unrolled: 1-line block ×3, first 2 shown]
	v_and_b32_e32 v8, 0x380038, v4
	v_pk_add_f16 v92, v23, v0
	v_pk_fma_f16 v93, v1, s36, v33 op_sel_hi:[1,0,1]
	v_pk_add_f16 v94, v23, v5
	v_pk_add_f16 v99, v23, v46
	;; [unrolled: 1-line block ×5, first 2 shown]
	v_and_b32_e32 v0, 0x70007, v11
	v_and_b32_e32 v1, 0x380038, v11
	v_lshrrev_b32_e32 v2, 6, v11
	v_lshrrev_b32_e32 v6, 15, v11
	v_and_b32_e32 v11, 0x70007, v10
	v_and_b32_e32 v23, 0x380038, v10
	;; [unrolled: 1-line block ×3, first 2 shown]
	v_pk_fma_f16 v83, v53, s36, v47 op_sel_hi:[1,0,1]
	v_pk_fma_f16 v86, v55, s36, v47 op_sel_hi:[1,0,1]
	;; [unrolled: 1-line block ×3, first 2 shown]
	v_or_b32_e32 v8, 0x64006400, v8
	v_and_b32_e32 v4, 0x1c001c0, v4
	v_and_b32_e32 v47, 0x380038, v45
	;; [unrolled: 1-line block ×5, first 2 shown]
	v_or_b32_e32 v10, 0x64006400, v10
	v_or_b32_e32 v4, 0x64006400, v4
	;; [unrolled: 1-line block ×8, first 2 shown]
	v_pk_fma_f16 v95, v8, s36, v33 op_sel_hi:[1,0,1]
	v_or_b32_e32 v0, 0x64006400, v0
	v_or_b32_e32 v1, 0x64006400, v1
	v_and_b32_e32 v8, 0x70007, v7
	v_and_b32_e32 v9, 0x380038, v7
	v_lshrrev_b32_e32 v7, 14, v7
	v_pk_fma_f16 v48, v10, s37, v22 op_sel_hi:[1,0,1]
	v_mov_b32_e32 v10, s31
	v_pk_fma_f16 v96, v4, s37, v38 op_sel_hi:[1,0,1]
	v_pk_fma_f16 v98, v39, s36, v33 op_sel_hi:[1,0,1]
	;; [unrolled: 1-line block ×7, first 2 shown]
	v_and_b32_e32 v4, 0x70007, v2
	v_and_b32_e32 v5, 0x380038, v2
	;; [unrolled: 1-line block ×6, first 2 shown]
	v_lshrrev_b32_e32 v39, 6, v3
	v_lshrrev_b32_e32 v3, 13, v3
	v_pk_add_f16 v113, v20, v0
	v_pk_fma_f16 v114, v1, s36, v21 op_sel_hi:[1,0,1]
	ds_read2_b32 v[0:1], v10 offset1:1
	v_or_b32_e32 v2, 0x64006400, v2
	v_and_b32_e32 v3, 0x40004, v3
	v_and_or_b32 v6, v6, s34, v7
	v_and_b32_e32 v45, 0x70007, v39
	v_or3_b32 v6, v6, v3, s35
	v_pk_fma_f16 v108, v2, s37, v22 op_sel_hi:[1,0,1]
	ds_read2_b32 v[2:3], v10 offset0:2 offset1:3
	v_or_b32_e32 v4, 0x64006400, v4
	v_or_b32_e32 v5, 0x64006400, v5
	;; [unrolled: 1-line block ×3, first 2 shown]
	v_and_b32_e32 v45, 0x380038, v39
	v_or_b32_e32 v8, 0x64006400, v8
	v_or_b32_e32 v9, 0x64006400, v9
	v_or_b32_e32 v11, 0x64006400, v11
	v_or_b32_e32 v23, 0x64006400, v23
	v_or_b32_e32 v33, 0x64006400, v33
	v_or_b32_e32 v38, 0x64006400, v38
	v_or_b32_e32 v52, 0x64006400, v45
	v_pk_add_f16 v111, v20, v4
	v_pk_fma_f16 v112, v5, s36, v21 op_sel_hi:[1,0,1]
	ds_read2_b32 v[4:5], v10 offset0:4 offset1:5
	v_pk_add_f16 v109, v20, v8
	v_pk_fma_f16 v45, v9, s36, v21 op_sel_hi:[1,0,1]
	v_pk_add_f16 v46, v20, v11
	v_pk_fma_f16 v47, v23, s36, v21 op_sel_hi:[1,0,1]
	;; [unrolled: 2-line block ×4, first 2 shown]
	v_pk_add_f16 v54, v20, v6
	ds_read2_b32 v[20:21], v10 offset0:10 offset1:11
	s_waitcnt lgkmcnt(3)
	v_pk_fma_f16 v6, v71, v0, 0
	v_and_b32_e32 v39, 0x1c001c0, v39
	v_pk_fma_f16 v6, v72, v1, v6
	v_or_b32_e32 v39, 0x64006400, v39
	s_waitcnt lgkmcnt(2)
	v_pk_fma_f16 v8, v74, v2, v6
	ds_read2_b32 v[6:7], v10 offset0:6 offset1:7
	v_pk_fma_f16 v8, v73, v3, v8
	v_pk_fma_f16 v53, v39, s37, v22 op_sel_hi:[1,0,1]
	s_waitcnt lgkmcnt(2)
	v_pk_fma_f16 v11, v67, v4, v8
	ds_read2_b32 v[8:9], v10 offset0:8 offset1:9
	ds_read2_b32 v[22:23], v10 offset0:12 offset1:13
	;; [unrolled: 1-line block ×3, first 2 shown]
	v_pk_fma_f16 v11, v68, v5, v11
	s_waitcnt lgkmcnt(3)
	v_pk_fma_f16 v11, v69, v6, v11
	s_nop 0
	v_pk_fma_f16 v11, v70, v7, v11
	s_waitcnt lgkmcnt(2)
	v_pk_fma_f16 v11, v64, v8, v11
	s_nop 0
	v_pk_fma_f16 v11, v65, v9, v11
	s_nop 0
	;; [unrolled: 2-line block ×3, first 2 shown]
	v_pk_fma_f16 v11, v63, v21, v11
	s_waitcnt lgkmcnt(1)
	v_pk_fma_f16 v11, v59, v22, v11
	s_nop 0
	v_pk_fma_f16 v11, v60, v23, v11
	s_waitcnt lgkmcnt(0)
	v_pk_fma_f16 v11, v61, v38, v11
	s_nop 0
	v_pk_fma_f16 v117, v62, v39, v11
	v_pk_fma_f16 v11, v75, v0, 0
	s_nop 0
	v_pk_fma_f16 v11, v76, v1, v11
	s_nop 0
	;; [unrolled: 2-line block ×15, first 2 shown]
	v_pk_fma_f16 v118, v90, v39, v11
	v_pk_fma_f16 v11, v92, v0, 0
	;; [unrolled: 1-line block ×25, first 2 shown]
	ds_read2_b32 v[20:21], v10 offset0:74 offset1:75
	v_pk_fma_f16 v2, v51, v22, v0
	ds_read2_b32 v[0:1], v10 offset0:64 offset1:65
	v_pk_fma_f16 v2, v52, v23, v2
	v_pk_fma_f16 v11, v104, v22, v11
	;; [unrolled: 1-line block ×3, first 2 shown]
	ds_read2_b32 v[2:3], v10 offset0:66 offset1:67
	v_pk_fma_f16 v56, v54, v39, v4
	ds_read2_b32 v[4:5], v10 offset0:68 offset1:69
	s_waitcnt lgkmcnt(2)
	v_pk_fma_f16 v6, v71, v0, 0
	v_pk_fma_f16 v11, v105, v23, v11
	;; [unrolled: 1-line block ×4, first 2 shown]
	s_waitcnt lgkmcnt(1)
	v_pk_fma_f16 v8, v74, v2, v6
	ds_read2_b32 v[6:7], v10 offset0:70 offset1:71
	ds_read2_b32 v[22:23], v10 offset0:76 offset1:77
	v_pk_fma_f16 v8, v73, v3, v8
	v_pk_fma_f16 v55, v107, v39, v11
	s_waitcnt lgkmcnt(2)
	v_pk_fma_f16 v11, v67, v4, v8
	ds_read2_b32 v[8:9], v10 offset0:72 offset1:73
	ds_read2_b32 v[38:39], v10 offset0:78 offset1:79
	v_pk_fma_f16 v11, v68, v5, v11
	s_waitcnt lgkmcnt(3)
	v_pk_fma_f16 v11, v69, v6, v11
	s_nop 0
	v_pk_fma_f16 v11, v70, v7, v11
	s_waitcnt lgkmcnt(1)
	v_pk_fma_f16 v11, v64, v8, v11
	s_nop 0
	v_pk_fma_f16 v11, v65, v9, v11
	s_nop 0
	;; [unrolled: 2-line block ×5, first 2 shown]
	v_pk_fma_f16 v11, v60, v23, v11
	s_waitcnt lgkmcnt(0)
	v_pk_fma_f16 v11, v61, v38, v11
	s_nop 0
	v_pk_fma_f16 v120, v62, v39, v11
	v_pk_fma_f16 v11, v75, v0, 0
	s_nop 0
	v_pk_fma_f16 v11, v76, v1, v11
	s_nop 0
	;; [unrolled: 2-line block ×15, first 2 shown]
	v_pk_fma_f16 v121, v90, v39, v11
	v_pk_fma_f16 v11, v92, v0, 0
	;; [unrolled: 1-line block ×25, first 2 shown]
	ds_read2_b32 v[20:21], v10 offset0:138 offset1:139
	v_pk_fma_f16 v2, v51, v22, v0
	ds_read2_b32 v[0:1], v10 offset0:128 offset1:129
	v_pk_fma_f16 v2, v52, v23, v2
	v_pk_fma_f16 v11, v104, v22, v11
	;; [unrolled: 1-line block ×3, first 2 shown]
	ds_read2_b32 v[2:3], v10 offset0:130 offset1:131
	v_pk_fma_f16 v58, v54, v39, v4
	ds_read2_b32 v[4:5], v10 offset0:132 offset1:133
	s_waitcnt lgkmcnt(2)
	v_pk_fma_f16 v6, v71, v0, 0
	v_pk_fma_f16 v11, v105, v23, v11
	;; [unrolled: 1-line block ×4, first 2 shown]
	s_waitcnt lgkmcnt(1)
	v_pk_fma_f16 v8, v74, v2, v6
	ds_read2_b32 v[6:7], v10 offset0:134 offset1:135
	ds_read2_b32 v[22:23], v10 offset0:140 offset1:141
	v_pk_fma_f16 v8, v73, v3, v8
	v_pk_fma_f16 v57, v107, v39, v11
	s_waitcnt lgkmcnt(2)
	v_pk_fma_f16 v11, v67, v4, v8
	ds_read2_b32 v[8:9], v10 offset0:136 offset1:137
	ds_read2_b32 v[38:39], v10 offset0:142 offset1:143
	v_pk_fma_f16 v11, v68, v5, v11
	s_waitcnt lgkmcnt(3)
	v_pk_fma_f16 v11, v69, v6, v11
	s_nop 0
	v_pk_fma_f16 v11, v70, v7, v11
	s_waitcnt lgkmcnt(1)
	v_pk_fma_f16 v11, v64, v8, v11
	s_nop 0
	v_pk_fma_f16 v11, v65, v9, v11
	s_nop 0
	;; [unrolled: 2-line block ×5, first 2 shown]
	v_pk_fma_f16 v11, v60, v23, v11
	s_waitcnt lgkmcnt(0)
	v_pk_fma_f16 v11, v61, v38, v11
	s_nop 0
	v_pk_fma_f16 v123, v62, v39, v11
	v_pk_fma_f16 v11, v75, v0, 0
	s_nop 0
	v_pk_fma_f16 v11, v76, v1, v11
	s_nop 0
	;; [unrolled: 2-line block ×15, first 2 shown]
	v_pk_fma_f16 v124, v90, v39, v11
	v_pk_fma_f16 v11, v92, v0, 0
	v_pk_fma_f16 v0, v113, v0, 0
	v_pk_fma_f16 v11, v93, v1, v11
	v_pk_fma_f16 v0, v114, v1, v0
	v_pk_fma_f16 v11, v94, v2, v11
	v_pk_fma_f16 v0, v111, v2, v0
	v_pk_fma_f16 v11, v95, v3, v11
	v_pk_fma_f16 v0, v112, v3, v0
	v_pk_fma_f16 v11, v96, v4, v11
	v_pk_fma_f16 v0, v108, v4, v0
	v_pk_fma_f16 v11, v97, v5, v11
	v_pk_fma_f16 v0, v109, v5, v0
	v_pk_fma_f16 v11, v98, v6, v11
	v_pk_fma_f16 v0, v45, v6, v0
	v_pk_fma_f16 v11, v99, v7, v11
	v_pk_fma_f16 v0, v46, v7, v0
	v_pk_fma_f16 v11, v100, v8, v11
	v_pk_fma_f16 v0, v47, v8, v0
	v_pk_fma_f16 v11, v101, v9, v11
	v_pk_fma_f16 v0, v48, v9, v0
	v_pk_fma_f16 v11, v102, v20, v11
	v_pk_fma_f16 v0, v49, v20, v0
	v_pk_fma_f16 v11, v103, v21, v11
	v_pk_fma_f16 v0, v50, v21, v0
	ds_read2_b32 v[20:21], v10 offset0:192 offset1:193
	ds_read2_b32 v[8:9], v10 offset0:194 offset1:195
	v_pk_fma_f16 v0, v51, v22, v0
	v_pk_fma_f16 v11, v104, v22, v11
	;; [unrolled: 1-line block ×5, first 2 shown]
	s_waitcnt lgkmcnt(1)
	v_pk_fma_f16 v22, v75, v20, 0
	v_pk_fma_f16 v110, v54, v39, v0
	;; [unrolled: 1-line block ×5, first 2 shown]
	ds_read2_b32 v[0:1], v10 offset0:196 offset1:197
	s_waitcnt lgkmcnt(1)
	v_pk_fma_f16 v4, v74, v8, v2
	ds_read2_b32 v[2:3], v10 offset0:198 offset1:199
	v_pk_fma_f16 v6, v73, v9, v4
	ds_read2_b32 v[4:5], v10 offset0:200 offset1:201
	v_pk_fma_f16 v20, v113, v20, 0
	v_pk_fma_f16 v22, v76, v21, v22
	;; [unrolled: 1-line block ×4, first 2 shown]
	ds_read2_b32 v[20:21], v10 offset0:204 offset1:205
	s_waitcnt lgkmcnt(3)
	v_pk_fma_f16 v6, v67, v0, v6
	v_pk_fma_f16 v11, v106, v38, v11
	;; [unrolled: 1-line block ×4, first 2 shown]
	s_waitcnt lgkmcnt(2)
	v_pk_fma_f16 v6, v69, v2, v6
	v_pk_fma_f16 v22, v77, v8, v22
	;; [unrolled: 1-line block ×4, first 2 shown]
	s_waitcnt lgkmcnt(1)
	v_pk_fma_f16 v6, v64, v4, v6
	v_pk_fma_f16 v8, v111, v8, v33
	;; [unrolled: 1-line block ×3, first 2 shown]
	ds_read2_b32 v[6:7], v10 offset0:202 offset1:203
	v_pk_fma_f16 v22, v78, v9, v22
	v_pk_fma_f16 v23, v95, v9, v23
	;; [unrolled: 1-line block ×3, first 2 shown]
	ds_read2_b32 v[8:9], v10 offset0:206 offset1:207
	s_waitcnt lgkmcnt(1)
	v_pk_fma_f16 v10, v66, v6, v11
	s_nop 0
	v_pk_fma_f16 v10, v63, v7, v10
	s_nop 0
	;; [unrolled: 2-line block ×3, first 2 shown]
	v_pk_fma_f16 v10, v60, v21, v10
	s_waitcnt lgkmcnt(0)
	v_pk_fma_f16 v10, v61, v8, v10
	s_nop 0
	v_pk_fma_f16 v127, v62, v9, v10
	v_pk_fma_f16 v10, v79, v0, v22
	s_nop 0
	v_pk_fma_f16 v10, v80, v1, v10
	s_nop 0
	;; [unrolled: 2-line block ×11, first 2 shown]
	v_pk_fma_f16 v38, v90, v9, v10
	v_pk_fma_f16 v10, v96, v0, v23
	;; [unrolled: 1-line block ×21, first 2 shown]
	v_mov_b32_e32 v0, s18
	ds_read2_b32 v[6:7], v0 offset1:1
	s_add_i32 s18, s31, 0x408
	v_mov_b32_e32 v0, s18
	ds_read2_b32 v[0:1], v0 offset1:1
	v_pk_fma_f16 v2, v53, v8, v2
	s_add_i32 s18, s31, 0x410
	v_pk_fma_f16 v116, v54, v9, v2
	s_waitcnt lgkmcnt(1)
	v_pk_fma_f16 v2, v71, v6, 0
	v_pk_fma_f16 v10, v106, v8, v10
	;; [unrolled: 1-line block ×4, first 2 shown]
	s_waitcnt lgkmcnt(0)
	v_pk_fma_f16 v2, v74, v0, v2
	v_pk_fma_f16 v10, v75, v6, 0
	;; [unrolled: 1-line block ×3, first 2 shown]
	v_mov_b32_e32 v2, s18
	ds_read2_b32 v[2:3], v2 offset1:1
	s_add_i32 s18, s31, 0x418
	v_mov_b32_e32 v4, s18
	ds_read2_b32 v[4:5], v4 offset1:1
	s_add_i32 s18, s31, 0x420
	v_mov_b32_e32 v9, s18
	v_pk_fma_f16 v11, v92, v6, 0
	v_pk_fma_f16 v6, v113, v6, 0
	v_pk_fma_f16 v10, v76, v7, v10
	v_pk_fma_f16 v11, v93, v7, v11
	v_pk_fma_f16 v20, v114, v7, v6
	ds_read2_b32 v[6:7], v9 offset1:1
	s_add_i32 s18, s31, 0x428
	s_waitcnt lgkmcnt(2)
	v_pk_fma_f16 v8, v67, v2, v8
	v_mov_b32_e32 v9, s18
	v_pk_fma_f16 v10, v77, v0, v10
	v_pk_fma_f16 v11, v94, v0, v11
	v_pk_fma_f16 v0, v111, v0, v20
	v_pk_fma_f16 v8, v68, v3, v8
	v_pk_fma_f16 v10, v78, v1, v10
	v_pk_fma_f16 v11, v95, v1, v11
	v_pk_fma_f16 v20, v112, v1, v0
	ds_read2_b32 v[0:1], v9 offset1:1
	s_add_i32 s18, s31, 0x430
	s_waitcnt lgkmcnt(2)
	v_pk_fma_f16 v8, v69, v4, v8
	v_mov_b32_e32 v9, s18
	v_pk_fma_f16 v10, v79, v2, v10
	v_pk_fma_f16 v11, v96, v2, v11
	;; [unrolled: 12-line block ×3, first 2 shown]
	v_pk_fma_f16 v4, v45, v4, v20
	v_pk_fma_f16 v8, v65, v7, v8
	;; [unrolled: 1-line block ×5, first 2 shown]
	ds_read2_b32 v[4:5], v9 offset1:1
	s_waitcnt lgkmcnt(2)
	v_pk_fma_f16 v8, v66, v0, v8
	s_add_i32 s18, s31, 0x500
	v_pk_fma_f16 v8, v63, v1, v8
	s_waitcnt lgkmcnt(1)
	v_pk_fma_f16 v8, v59, v2, v8
	s_nop 0
	v_pk_fma_f16 v8, v60, v3, v8
	s_waitcnt lgkmcnt(0)
	v_pk_fma_f16 v8, v61, v4, v8
	s_nop 0
	v_pk_fma_f16 v39, v62, v5, v8
	v_pk_fma_f16 v8, v83, v6, v10
	s_nop 0
	v_pk_fma_f16 v8, v84, v7, v8
	s_nop 0
	;; [unrolled: 2-line block ×7, first 2 shown]
	v_pk_fma_f16 v33, v90, v5, v8
	v_pk_fma_f16 v8, v100, v6, v11
	v_pk_fma_f16 v6, v47, v6, v20
	v_pk_fma_f16 v8, v101, v7, v8
	v_pk_fma_f16 v6, v48, v7, v6
	v_pk_fma_f16 v8, v102, v0, v8
	v_pk_fma_f16 v0, v49, v0, v6
	v_pk_fma_f16 v8, v103, v1, v8
	v_pk_fma_f16 v0, v50, v1, v0
	v_pk_fma_f16 v8, v104, v2, v8
	v_pk_fma_f16 v0, v51, v2, v0
	v_pk_fma_f16 v8, v105, v3, v8
	v_pk_fma_f16 v6, v52, v3, v0
	v_mov_b32_e32 v0, s18
	ds_read2_b32 v[0:1], v0 offset1:1
	s_add_i32 s18, s31, 0x508
	v_mov_b32_e32 v2, s18
	ds_read2_b32 v[2:3], v2 offset1:1
	v_pk_fma_f16 v8, v106, v4, v8
	v_pk_fma_f16 v4, v53, v4, v6
	s_add_i32 s18, s31, 0x510
	v_pk_fma_f16 v119, v107, v5, v8
	v_pk_fma_f16 v122, v54, v5, v4
	s_waitcnt lgkmcnt(1)
	v_pk_fma_f16 v4, v71, v0, 0
	v_mov_b32_e32 v5, s18
	v_pk_fma_f16 v6, v75, v0, 0
	v_pk_fma_f16 v7, v92, v0, 0
	v_pk_fma_f16 v0, v113, v0, 0
	v_pk_fma_f16 v4, v72, v1, v4
	v_pk_fma_f16 v6, v76, v1, v6
	v_pk_fma_f16 v7, v93, v1, v7
	v_pk_fma_f16 v8, v114, v1, v0
	ds_read2_b32 v[0:1], v5 offset1:1
	s_add_i32 s18, s31, 0x518
	s_waitcnt lgkmcnt(1)
	v_pk_fma_f16 v4, v74, v2, v4
	v_mov_b32_e32 v5, s18
	v_pk_fma_f16 v6, v77, v2, v6
	v_pk_fma_f16 v7, v94, v2, v7
	v_pk_fma_f16 v2, v111, v2, v8
	v_pk_fma_f16 v4, v73, v3, v4
	v_pk_fma_f16 v6, v78, v3, v6
	v_pk_fma_f16 v7, v95, v3, v7
	v_pk_fma_f16 v8, v112, v3, v2
	ds_read2_b32 v[2:3], v5 offset1:1
	s_add_i32 s18, s31, 0x520
	s_waitcnt lgkmcnt(1)
	v_pk_fma_f16 v4, v67, v0, v4
	v_mov_b32_e32 v5, s18
	v_pk_fma_f16 v6, v79, v0, v6
	v_pk_fma_f16 v7, v96, v0, v7
	v_pk_fma_f16 v0, v108, v0, v8
	v_pk_fma_f16 v4, v68, v1, v4
	v_pk_fma_f16 v6, v80, v1, v6
	v_pk_fma_f16 v7, v97, v1, v7
	v_pk_fma_f16 v8, v109, v1, v0
	ds_read2_b32 v[0:1], v5 offset1:1
	s_add_i32 s18, s31, 0x528
	s_waitcnt lgkmcnt(1)
	v_pk_fma_f16 v4, v69, v2, v4
	v_mov_b32_e32 v5, s18
	v_pk_fma_f16 v6, v81, v2, v6
	v_pk_fma_f16 v7, v98, v2, v7
	v_pk_fma_f16 v2, v45, v2, v8
	v_pk_fma_f16 v4, v70, v3, v4
	v_pk_fma_f16 v6, v82, v3, v6
	v_pk_fma_f16 v7, v99, v3, v7
	v_pk_fma_f16 v8, v46, v3, v2
	ds_read2_b32 v[2:3], v5 offset1:1
	s_add_i32 s18, s31, 0x530
	s_waitcnt lgkmcnt(1)
	v_pk_fma_f16 v4, v64, v0, v4
	v_mov_b32_e32 v5, s18
	v_pk_fma_f16 v6, v83, v0, v6
	v_pk_fma_f16 v7, v100, v0, v7
	v_pk_fma_f16 v0, v47, v0, v8
	v_pk_fma_f16 v4, v65, v1, v4
	v_pk_fma_f16 v6, v84, v1, v6
	v_pk_fma_f16 v7, v101, v1, v7
	v_pk_fma_f16 v8, v48, v1, v0
	ds_read2_b32 v[0:1], v5 offset1:1
	s_add_i32 s18, s31, 0x538
	s_waitcnt lgkmcnt(1)
	v_pk_fma_f16 v4, v66, v2, v4
	v_mov_b32_e32 v5, s18
	v_pk_fma_f16 v6, v85, v2, v6
	v_pk_fma_f16 v7, v102, v2, v7
	;; [unrolled: 1-line block ×7, first 2 shown]
	ds_read2_b32 v[2:3], v5 offset1:1
	s_waitcnt lgkmcnt(1)
	v_pk_fma_f16 v4, v59, v0, v4
	s_add_i32 s18, s31, 0x600
	v_pk_fma_f16 v4, v60, v1, v4
	s_waitcnt lgkmcnt(0)
	v_pk_fma_f16 v4, v61, v2, v4
	s_nop 0
	v_pk_fma_f16 v14, v62, v3, v4
	v_pk_fma_f16 v4, v87, v0, v6
	s_nop 0
	v_pk_fma_f16 v4, v88, v1, v4
	s_nop 0
	;; [unrolled: 2-line block ×3, first 2 shown]
	v_pk_fma_f16 v12, v90, v3, v4
	v_pk_fma_f16 v4, v104, v0, v7
	;; [unrolled: 1-line block ×9, first 2 shown]
	v_mov_b32_e32 v0, s18
	ds_read2_b32 v[22:23], v0 offset1:1
	s_add_i32 s18, s31, 0x608
	v_mov_b32_e32 v0, s18
	ds_read2_b32 v[20:21], v0 offset1:1
	s_add_i32 s18, s31, 0x610
	s_waitcnt lgkmcnt(1)
	v_pk_fma_f16 v0, v71, v22, 0
	s_nop 0
	v_pk_fma_f16 v0, v72, v23, v0
	s_waitcnt lgkmcnt(0)
	v_pk_fma_f16 v0, v74, v20, v0
	s_nop 0
	v_pk_fma_f16 v2, v73, v21, v0
	v_mov_b32_e32 v0, s18
	ds_read2_b32 v[10:11], v0 offset1:1
	s_add_i32 s18, s31, 0x618
	v_mov_b32_e32 v0, s18
	ds_read2_b32 v[0:1], v0 offset1:1
	s_add_i32 s18, s31, 0x620
	s_waitcnt lgkmcnt(1)
	v_pk_fma_f16 v2, v67, v10, v2
	s_nop 0
	v_pk_fma_f16 v2, v68, v11, v2
	s_waitcnt lgkmcnt(0)
	v_pk_fma_f16 v2, v69, v0, v2
	s_nop 0
	v_pk_fma_f16 v6, v70, v1, v2
	;; [unrolled: 14-line block ×3, first 2 shown]
	v_mov_b32_e32 v6, s18
	ds_read2_b32 v[6:7], v6 offset1:1
	s_add_i32 s18, s31, 0x638
	v_mov_b32_e32 v8, s18
	ds_read2_b32 v[8:9], v8 offset1:1
	s_add_i32 s31, s31, 64
	s_waitcnt lgkmcnt(1)
	v_pk_fma_f16 v59, v59, v6, v63
	s_cmp_ge_i32 s27, s28
	v_pk_fma_f16 v59, v60, v7, v59
	v_pk_fma_f16 v60, v75, v22, 0
	s_waitcnt lgkmcnt(0)
	v_pk_fma_f16 v59, v61, v8, v59
	v_pk_fma_f16 v60, v76, v23, v60
	;; [unrolled: 1-line block ×4, first 2 shown]
	v_pack_b32_f16 v61, v117, v118
	v_pk_fma_f16 v60, v78, v21, v60
	v_perm_b32 v62, v118, v117, s38
	v_pk_fma_f16 v60, v79, v10, v60
	v_pk_add_f16 v61, v61, v62
	v_pk_fma_f16 v60, v80, v11, v60
	v_pk_fma_f16 v36, v61, v18, v36
	;; [unrolled: 1-line block ×3, first 2 shown]
	v_pack_b32_f16 v61, v120, v121
	v_perm_b32 v62, v121, v120, s38
	v_pk_fma_f16 v60, v82, v1, v60
	v_pk_add_f16 v61, v61, v62
	v_pk_fma_f16 v60, v83, v2, v60
	v_pk_fma_f16 v34, v61, v18, v34
	v_pack_b32_f16 v61, v123, v124
	v_perm_b32 v62, v124, v123, s38
	v_pk_fma_f16 v60, v84, v3, v60
	v_pk_add_f16 v61, v61, v62
	v_pk_fma_f16 v60, v85, v4, v60
	v_pk_fma_f16 v31, v61, v18, v31
	;; [unrolled: 6-line block ×4, first 2 shown]
	v_pack_b32_f16 v33, v14, v12
	v_perm_b32 v12, v12, v14, s38
	v_pk_fma_f16 v60, v90, v9, v60
	v_pk_add_f16 v12, v33, v12
	v_perm_b32 v14, v60, v59, s38
	v_pk_fma_f16 v25, v12, v18, v25
	v_pack_b32_f16 v12, v59, v60
	v_pk_add_f16 v12, v12, v14
	s_nop 0
	v_pk_fma_f16 v15, v12, v18, v15
	v_pk_fma_f16 v12, v92, v22, 0
	s_nop 0
	v_pk_fma_f16 v12, v93, v23, v12
	s_nop 0
	;; [unrolled: 2-line block ×15, first 2 shown]
	v_pk_fma_f16 v38, v107, v9, v12
	v_pk_fma_f16 v12, v113, v22, 0
	s_nop 0
	v_pk_fma_f16 v12, v114, v23, v12
	s_nop 0
	;; [unrolled: 2-line block ×7, first 2 shown]
	v_pk_fma_f16 v0, v46, v1, v0
	v_pack_b32_f16 v1, v55, v56
	v_pk_fma_f16 v0, v47, v2, v0
	v_perm_b32 v2, v56, v55, s38
	v_pk_add_f16 v1, v1, v2
	v_perm_b32 v2, v58, v57, s38
	v_pk_fma_f16 v35, v1, v19, v35
	v_pack_b32_f16 v1, v57, v58
	v_pk_add_f16 v1, v1, v2
	v_perm_b32 v2, v110, v91, s38
	v_pk_fma_f16 v32, v1, v19, v32
	v_pack_b32_f16 v1, v91, v110
	v_pk_fma_f16 v0, v48, v3, v0
	v_pk_add_f16 v1, v1, v2
	v_pk_fma_f16 v0, v49, v4, v0
	v_pk_fma_f16 v30, v1, v19, v30
	v_pack_b32_f16 v1, v115, v116
	v_perm_b32 v2, v116, v115, s38
	v_pk_fma_f16 v0, v50, v5, v0
	v_pk_add_f16 v1, v1, v2
	v_pk_fma_f16 v0, v51, v6, v0
	v_pk_fma_f16 v28, v1, v19, v28
	v_pack_b32_f16 v1, v119, v122
	v_perm_b32 v2, v122, v119, s38
	;; [unrolled: 6-line block ×3, first 2 shown]
	v_pk_fma_f16 v0, v54, v9, v0
	v_pk_add_f16 v1, v1, v2
	s_nop 0
	v_pk_fma_f16 v24, v1, v19, v24
	v_pack_b32_f16 v1, v38, v0
	v_perm_b32 v0, v0, v38, s38
	v_pk_add_f16 v0, v1, v0
	s_nop 0
	v_pk_fma_f16 v13, v0, v19, v13
	s_cbranch_scc1 .LBB40_54
.LBB40_37:                              ; =>This Inner Loop Header: Depth=1
	s_cmp_lg_u32 s27, s33
	s_cbranch_scc1 .LBB40_36
; %bb.38:                               ;   in Loop: Header=BB40_37 Depth=1
	scratch_load_dwordx2 v[0:1], off, off offset:8 ; 8-byte Folded Reload
	s_add_i32 s30, s30, 1
	s_mul_i32 s39, s30, s16
	s_ashr_i32 s18, s39, 31
	s_lshr_b32 s18, s18, 27
	s_add_i32 s18, s39, s18
	s_ashr_i32 s18, s18, 5
                                        ; implicit-def: $vgpr2
	s_waitcnt vmcnt(0)
	v_mad_u64_u32 v[0:1], s[18:19], s18, 3, v[0:1]
	v_ashrrev_i32_e32 v1, 31, v0
	v_lshl_add_u64 v[0:1], v[0:1], 2, s[10:11]
	global_load_dword v3, v[0:1], off
	s_and_saveexec_b64 s[18:19], vcc
	s_xor_b64 s[18:19], exec, s[18:19]
	s_cbranch_execz .LBB40_52
; %bb.39:                               ;   in Loop: Header=BB40_37 Depth=1
                                        ; implicit-def: $vgpr2
	s_and_saveexec_b64 s[20:21], s[0:1]
	s_xor_b64 s[20:21], exec, s[20:21]
	s_cbranch_execz .LBB40_49
; %bb.40:                               ;   in Loop: Header=BB40_37 Depth=1
                                        ; implicit-def: $vgpr2
	s_and_saveexec_b64 s[22:23], s[2:3]
	;; [unrolled: 5-line block ×3, first 2 shown]
	s_xor_b64 s[24:25], exec, s[24:25]
	s_cbranch_execz .LBB40_43
; %bb.42:                               ;   in Loop: Header=BB40_37 Depth=1
	scratch_load_dword v0, off, off offset:24 ; 4-byte Folded Reload
	s_waitcnt vmcnt(0)
	v_lshrrev_b32_e32 v2, v0, v3
                                        ; implicit-def: $vgpr0_vgpr1
                                        ; implicit-def: $vgpr3
.LBB40_43:                              ;   in Loop: Header=BB40_37 Depth=1
	s_andn2_saveexec_b64 s[24:25], s[24:25]
	s_cbranch_execz .LBB40_45
; %bb.44:                               ;   in Loop: Header=BB40_37 Depth=1
	global_load_dword v0, v[0:1], off offset:4
	s_waitcnt vmcnt(0)
	v_alignbit_b32 v0, v0, v3, 28
	v_and_b32_e32 v2, 0xfff, v0
.LBB40_45:                              ;   in Loop: Header=BB40_37 Depth=1
	s_or_b64 exec, exec, s[24:25]
                                        ; implicit-def: $vgpr3
.LBB40_46:                              ;   in Loop: Header=BB40_37 Depth=1
	s_andn2_saveexec_b64 s[22:23], s[22:23]
	s_cbranch_execz .LBB40_48
; %bb.47:                               ;   in Loop: Header=BB40_37 Depth=1
	scratch_load_dword v0, off, off offset:20 ; 4-byte Folded Reload
	s_waitcnt vmcnt(0)
	v_lshrrev_b32_e32 v2, v0, v3
.LBB40_48:                              ;   in Loop: Header=BB40_37 Depth=1
	s_or_b64 exec, exec, s[22:23]
                                        ; implicit-def: $vgpr0_vgpr1
                                        ; implicit-def: $vgpr3
.LBB40_49:                              ;   in Loop: Header=BB40_37 Depth=1
	s_andn2_saveexec_b64 s[20:21], s[20:21]
	s_cbranch_execz .LBB40_51
; %bb.50:                               ;   in Loop: Header=BB40_37 Depth=1
	global_load_dword v0, v[0:1], off offset:4
	s_waitcnt vmcnt(0)
	v_perm_b32 v0, v3, v0, s17
	v_and_b32_e32 v2, 0xfff, v0
.LBB40_51:                              ;   in Loop: Header=BB40_37 Depth=1
	s_or_b64 exec, exec, s[20:21]
                                        ; implicit-def: $vgpr3
.LBB40_52:                              ;   in Loop: Header=BB40_37 Depth=1
	s_andn2_saveexec_b64 s[18:19], s[18:19]
	s_cbranch_execz .LBB40_35
; %bb.53:                               ;   in Loop: Header=BB40_37 Depth=1
	scratch_load_dword v0, off, off offset:16 ; 4-byte Folded Reload
	s_waitcnt vmcnt(0)
	v_lshrrev_b32_e32 v2, v0, v3
	s_branch .LBB40_35
.LBB40_54:
	scratch_load_dwordx2 v[0:1], off, off   ; 8-byte Folded Reload
	s_mul_i32 s26, s26, s16
	s_mov_b64 s[0:1], 0
	s_waitcnt vmcnt(0)
	v_add_u32_e32 v0, s26, v0
	v_ashrrev_i32_e32 v1, 31, v0
	v_lshl_add_u64 v[2:3], v[0:1], 1, s[14:15]
	global_load_dword v5, v[2:3], off
.LBB40_55:                              ; =>This Inner Loop Header: Depth=1
	s_waitcnt vmcnt(0)
	v_pk_add_f16 v4, v36, v5
	global_atomic_cmpswap v1, v[2:3], v[4:5], off sc0
	s_waitcnt vmcnt(0)
	v_cmp_eq_u32_e32 vcc, v5, v1
	s_or_b64 s[0:1], vcc, s[0:1]
	v_mov_b32_e32 v5, v1
	s_andn2_b64 exec, exec, s[0:1]
	s_cbranch_execnz .LBB40_55
; %bb.56:
	s_or_b64 exec, exec, s[0:1]
	global_load_dword v5, v[2:3], off offset:4
	s_mov_b64 s[0:1], 0
.LBB40_57:                              ; =>This Inner Loop Header: Depth=1
	s_waitcnt vmcnt(0)
	v_pk_add_f16 v4, v35, v5
	global_atomic_cmpswap v1, v[2:3], v[4:5], off offset:4 sc0
	s_waitcnt vmcnt(0)
	v_cmp_eq_u32_e32 vcc, v5, v1
	s_or_b64 s[0:1], vcc, s[0:1]
	v_mov_b32_e32 v5, v1
	s_andn2_b64 exec, exec, s[0:1]
	s_cbranch_execnz .LBB40_57
; %bb.58:
	s_or_b64 exec, exec, s[0:1]
	v_add_u32_e32 v0, s16, v0
	v_ashrrev_i32_e32 v1, 31, v0
	v_lshl_add_u64 v[2:3], v[0:1], 1, s[14:15]
	global_load_dword v5, v[2:3], off
	s_mov_b64 s[0:1], 0
.LBB40_59:                              ; =>This Inner Loop Header: Depth=1
	s_waitcnt vmcnt(0)
	v_pk_add_f16 v4, v34, v5
	global_atomic_cmpswap v1, v[2:3], v[4:5], off sc0
	s_waitcnt vmcnt(0)
	v_cmp_eq_u32_e32 vcc, v5, v1
	s_or_b64 s[0:1], vcc, s[0:1]
	v_mov_b32_e32 v5, v1
	s_andn2_b64 exec, exec, s[0:1]
	s_cbranch_execnz .LBB40_59
; %bb.60:
	s_or_b64 exec, exec, s[0:1]
	global_load_dword v5, v[2:3], off offset:4
	s_mov_b64 s[0:1], 0
.LBB40_61:                              ; =>This Inner Loop Header: Depth=1
	s_waitcnt vmcnt(0)
	v_pk_add_f16 v4, v32, v5
	global_atomic_cmpswap v1, v[2:3], v[4:5], off offset:4 sc0
	s_waitcnt vmcnt(0)
	v_cmp_eq_u32_e32 vcc, v5, v1
	s_or_b64 s[0:1], vcc, s[0:1]
	v_mov_b32_e32 v5, v1
	s_andn2_b64 exec, exec, s[0:1]
	s_cbranch_execnz .LBB40_61
; %bb.62:
	s_or_b64 exec, exec, s[0:1]
	v_add_u32_e32 v0, s16, v0
	v_ashrrev_i32_e32 v1, 31, v0
	v_lshl_add_u64 v[2:3], v[0:1], 1, s[14:15]
	global_load_dword v5, v[2:3], off
	s_mov_b64 s[0:1], 0
	;; [unrolled: 31-line block ×6, first 2 shown]
.LBB40_79:                              ; =>This Inner Loop Header: Depth=1
	s_waitcnt vmcnt(0)
	v_pk_add_f16 v2, v15, v3
	global_atomic_cmpswap v2, v[0:1], v[2:3], off sc0
	s_waitcnt vmcnt(0)
	v_cmp_eq_u32_e32 vcc, v3, v2
	s_or_b64 s[0:1], vcc, s[0:1]
	v_mov_b32_e32 v3, v2
	s_andn2_b64 exec, exec, s[0:1]
	s_cbranch_execnz .LBB40_79
; %bb.80:
	s_or_b64 exec, exec, s[0:1]
	global_load_dword v3, v[0:1], off offset:4
	s_mov_b64 s[0:1], 0
.LBB40_81:                              ; =>This Inner Loop Header: Depth=1
	s_waitcnt vmcnt(0)
	v_pk_add_f16 v2, v13, v3
	global_atomic_cmpswap v2, v[0:1], v[2:3], off offset:4 sc0
	s_waitcnt vmcnt(0)
	v_cmp_eq_u32_e32 vcc, v3, v2
	s_or_b64 s[0:1], vcc, s[0:1]
	v_mov_b32_e32 v3, v2
	s_andn2_b64 exec, exec, s[0:1]
	s_cbranch_execnz .LBB40_81
.LBB40_82:
	s_endpgm
	.section	.rodata,"a",@progbits
	.p2align	6, 0x0
	.amdhsa_kernel _ZN4vllm4gptq33gemm_half_q_half_gptq_3bit_kernelILb1ELi7EEEvPK6__halfPKjS6_S4_PS2_iiiibPKi
		.amdhsa_group_segment_fixed_size 1792
		.amdhsa_private_segment_fixed_size 32
		.amdhsa_kernarg_size 72
		.amdhsa_user_sgpr_count 2
		.amdhsa_user_sgpr_dispatch_ptr 0
		.amdhsa_user_sgpr_queue_ptr 0
		.amdhsa_user_sgpr_kernarg_segment_ptr 1
		.amdhsa_user_sgpr_dispatch_id 0
		.amdhsa_user_sgpr_kernarg_preload_length 0
		.amdhsa_user_sgpr_kernarg_preload_offset 0
		.amdhsa_user_sgpr_private_segment_size 0
		.amdhsa_uses_dynamic_stack 0
		.amdhsa_enable_private_segment 1
		.amdhsa_system_sgpr_workgroup_id_x 1
		.amdhsa_system_sgpr_workgroup_id_y 1
		.amdhsa_system_sgpr_workgroup_id_z 1
		.amdhsa_system_sgpr_workgroup_info 0
		.amdhsa_system_vgpr_workitem_id 0
		.amdhsa_next_free_vgpr 128
		.amdhsa_next_free_sgpr 40
		.amdhsa_accum_offset 128
		.amdhsa_reserve_vcc 1
		.amdhsa_float_round_mode_32 0
		.amdhsa_float_round_mode_16_64 0
		.amdhsa_float_denorm_mode_32 3
		.amdhsa_float_denorm_mode_16_64 3
		.amdhsa_dx10_clamp 1
		.amdhsa_ieee_mode 1
		.amdhsa_fp16_overflow 0
		.amdhsa_tg_split 0
		.amdhsa_exception_fp_ieee_invalid_op 0
		.amdhsa_exception_fp_denorm_src 0
		.amdhsa_exception_fp_ieee_div_zero 0
		.amdhsa_exception_fp_ieee_overflow 0
		.amdhsa_exception_fp_ieee_underflow 0
		.amdhsa_exception_fp_ieee_inexact 0
		.amdhsa_exception_int_div_zero 0
	.end_amdhsa_kernel
	.section	.text._ZN4vllm4gptq33gemm_half_q_half_gptq_3bit_kernelILb1ELi7EEEvPK6__halfPKjS6_S4_PS2_iiiibPKi,"axG",@progbits,_ZN4vllm4gptq33gemm_half_q_half_gptq_3bit_kernelILb1ELi7EEEvPK6__halfPKjS6_S4_PS2_iiiibPKi,comdat
.Lfunc_end40:
	.size	_ZN4vllm4gptq33gemm_half_q_half_gptq_3bit_kernelILb1ELi7EEEvPK6__halfPKjS6_S4_PS2_iiiibPKi, .Lfunc_end40-_ZN4vllm4gptq33gemm_half_q_half_gptq_3bit_kernelILb1ELi7EEEvPK6__halfPKjS6_S4_PS2_iiiibPKi
                                        ; -- End function
	.set _ZN4vllm4gptq33gemm_half_q_half_gptq_3bit_kernelILb1ELi7EEEvPK6__halfPKjS6_S4_PS2_iiiibPKi.num_vgpr, 128
	.set _ZN4vllm4gptq33gemm_half_q_half_gptq_3bit_kernelILb1ELi7EEEvPK6__halfPKjS6_S4_PS2_iiiibPKi.num_agpr, 0
	.set _ZN4vllm4gptq33gemm_half_q_half_gptq_3bit_kernelILb1ELi7EEEvPK6__halfPKjS6_S4_PS2_iiiibPKi.numbered_sgpr, 40
	.set _ZN4vllm4gptq33gemm_half_q_half_gptq_3bit_kernelILb1ELi7EEEvPK6__halfPKjS6_S4_PS2_iiiibPKi.num_named_barrier, 0
	.set _ZN4vllm4gptq33gemm_half_q_half_gptq_3bit_kernelILb1ELi7EEEvPK6__halfPKjS6_S4_PS2_iiiibPKi.private_seg_size, 32
	.set _ZN4vllm4gptq33gemm_half_q_half_gptq_3bit_kernelILb1ELi7EEEvPK6__halfPKjS6_S4_PS2_iiiibPKi.uses_vcc, 1
	.set _ZN4vllm4gptq33gemm_half_q_half_gptq_3bit_kernelILb1ELi7EEEvPK6__halfPKjS6_S4_PS2_iiiibPKi.uses_flat_scratch, 0
	.set _ZN4vllm4gptq33gemm_half_q_half_gptq_3bit_kernelILb1ELi7EEEvPK6__halfPKjS6_S4_PS2_iiiibPKi.has_dyn_sized_stack, 0
	.set _ZN4vllm4gptq33gemm_half_q_half_gptq_3bit_kernelILb1ELi7EEEvPK6__halfPKjS6_S4_PS2_iiiibPKi.has_recursion, 0
	.set _ZN4vllm4gptq33gemm_half_q_half_gptq_3bit_kernelILb1ELi7EEEvPK6__halfPKjS6_S4_PS2_iiiibPKi.has_indirect_call, 0
	.section	.AMDGPU.csdata,"",@progbits
; Kernel info:
; codeLenInByte = 10696
; TotalNumSgprs: 46
; NumVgprs: 128
; NumAgprs: 0
; TotalNumVgprs: 128
; ScratchSize: 32
; MemoryBound: 0
; FloatMode: 240
; IeeeMode: 1
; LDSByteSize: 1792 bytes/workgroup (compile time only)
; SGPRBlocks: 5
; VGPRBlocks: 15
; NumSGPRsForWavesPerEU: 46
; NumVGPRsForWavesPerEU: 128
; AccumOffset: 128
; Occupancy: 4
; WaveLimiterHint : 0
; COMPUTE_PGM_RSRC2:SCRATCH_EN: 1
; COMPUTE_PGM_RSRC2:USER_SGPR: 2
; COMPUTE_PGM_RSRC2:TRAP_HANDLER: 0
; COMPUTE_PGM_RSRC2:TGID_X_EN: 1
; COMPUTE_PGM_RSRC2:TGID_Y_EN: 1
; COMPUTE_PGM_RSRC2:TGID_Z_EN: 1
; COMPUTE_PGM_RSRC2:TIDIG_COMP_CNT: 0
; COMPUTE_PGM_RSRC3_GFX90A:ACCUM_OFFSET: 31
; COMPUTE_PGM_RSRC3_GFX90A:TG_SPLIT: 0
	.section	.text._ZN4vllm4gptq33gemm_half_q_half_gptq_4bit_kernelILb1ELi7EEEvPK6__halfPKjS6_S4_PS2_iiiibPKi,"axG",@progbits,_ZN4vllm4gptq33gemm_half_q_half_gptq_4bit_kernelILb1ELi7EEEvPK6__halfPKjS6_S4_PS2_iiiibPKi,comdat
	.protected	_ZN4vllm4gptq33gemm_half_q_half_gptq_4bit_kernelILb1ELi7EEEvPK6__halfPKjS6_S4_PS2_iiiibPKi ; -- Begin function _ZN4vllm4gptq33gemm_half_q_half_gptq_4bit_kernelILb1ELi7EEEvPK6__halfPKjS6_S4_PS2_iiiibPKi
	.globl	_ZN4vllm4gptq33gemm_half_q_half_gptq_4bit_kernelILb1ELi7EEEvPK6__halfPKjS6_S4_PS2_iiiibPKi
	.p2align	8
	.type	_ZN4vllm4gptq33gemm_half_q_half_gptq_4bit_kernelILb1ELi7EEEvPK6__halfPKjS6_S4_PS2_iiiibPKi,@function
_ZN4vllm4gptq33gemm_half_q_half_gptq_4bit_kernelILb1ELi7EEEvPK6__halfPKjS6_S4_PS2_iiiibPKi: ; @_ZN4vllm4gptq33gemm_half_q_half_gptq_4bit_kernelILb1ELi7EEEvPK6__halfPKjS6_S4_PS2_iiiibPKi
; %bb.0:
	s_load_dwordx8 s[8:15], s[0:1], 0x8
	s_load_dwordx4 s[16:19], s[0:1], 0x2c
	s_lshl_b32 s25, s4, 7
	s_mul_i32 s24, s3, 7
	s_add_i32 s3, s25, 0x80
	v_cvt_f64_u32_e32 v[2:3], s3
	s_waitcnt lgkmcnt(0)
	v_cvt_f64_i32_e32 v[4:5], s17
	v_min_f64 v[2:3], v[2:3], v[4:5]
	v_cvt_i32_f64_e32 v1, v[2:3]
	v_add_u32_e32 v2, s25, v0
	v_readfirstlane_b32 s26, v1
	v_cmp_lt_u32_e32 vcc, v2, v1
	s_and_saveexec_b64 s[4:5], vcc
	s_cbranch_execz .LBB41_16
; %bb.1:
	s_load_dwordx2 s[22:23], s[0:1], 0x40
	s_load_dwordx2 s[6:7], s[0:1], 0x0
	v_mov_b32_e32 v3, 0
	v_mov_b64_e32 v[6:7], v[2:3]
	s_waitcnt lgkmcnt(0)
	s_cmp_lg_u64 s[22:23], 0
	s_cselect_b64 s[20:21], -1, 0
	s_cmp_eq_u64 s[22:23], 0
	v_lshl_add_u64 v[4:5], v[2:3], 2, s[22:23]
	s_cbranch_scc1 .LBB41_3
; %bb.2:
	global_load_dword v6, v[4:5], off
	s_waitcnt vmcnt(0)
	v_ashrrev_i32_e32 v7, 31, v6
.LBB41_3:
	s_mul_i32 s22, s24, s17
	s_ashr_i32 s23, s22, 31
	s_lshl_b64 s[0:1], s[22:23], 1
	s_add_u32 s0, s6, s0
	s_addc_u32 s1, s7, s1
	v_lshl_add_u64 v[6:7], v[6:7], 1, s[0:1]
	global_load_ushort v6, v[6:7], off
	v_lshlrev_b32_e32 v1, 1, v0
	v_cndmask_b32_e64 v7, 0, 1, s[20:21]
	v_cmp_ne_u32_e64 s[0:1], 1, v7
	s_andn2_b64 vcc, exec, s[20:21]
	s_waitcnt vmcnt(0)
	ds_write_b16 v1, v6
	v_mov_b64_e32 v[6:7], v[2:3]
	s_cbranch_vccnz .LBB41_5
; %bb.4:
	global_load_dword v6, v[4:5], off
	s_waitcnt vmcnt(0)
	v_ashrrev_i32_e32 v7, 31, v6
.LBB41_5:
	s_add_i32 s20, s22, s17
	s_ashr_i32 s21, s20, 31
	s_lshl_b64 s[22:23], s[20:21], 1
	s_add_u32 s22, s6, s22
	s_addc_u32 s23, s7, s23
	v_lshl_add_u64 v[6:7], v[6:7], 1, s[22:23]
	global_load_ushort v6, v[6:7], off
	s_and_b64 vcc, exec, s[0:1]
	s_waitcnt vmcnt(0)
	ds_write_b16 v1, v6 offset:256
	v_mov_b64_e32 v[6:7], v[2:3]
	s_cbranch_vccnz .LBB41_7
; %bb.6:
	global_load_dword v6, v[4:5], off
	s_waitcnt vmcnt(0)
	v_ashrrev_i32_e32 v7, 31, v6
.LBB41_7:
	s_add_i32 s20, s20, s17
	s_ashr_i32 s21, s20, 31
	s_lshl_b64 s[22:23], s[20:21], 1
	s_add_u32 s22, s6, s22
	s_addc_u32 s23, s7, s23
	v_lshl_add_u64 v[6:7], v[6:7], 1, s[22:23]
	global_load_ushort v6, v[6:7], off
	s_and_b64 vcc, exec, s[0:1]
	s_waitcnt vmcnt(0)
	ds_write_b16 v1, v6 offset:512
	;; [unrolled: 17-line block ×5, first 2 shown]
	s_cbranch_vccnz .LBB41_15
; %bb.14:
	global_load_dword v2, v[4:5], off
	s_waitcnt vmcnt(0)
	v_ashrrev_i32_e32 v3, 31, v2
.LBB41_15:
	s_add_i32 s0, s20, s17
	s_ashr_i32 s1, s0, 31
	s_lshl_b64 s[0:1], s[0:1], 1
	s_add_u32 s0, s6, s0
	s_addc_u32 s1, s7, s1
	v_lshl_add_u64 v[2:3], v[2:3], 1, s[0:1]
	global_load_ushort v2, v[2:3], off
	s_waitcnt vmcnt(0)
	ds_write_b16 v1, v2 offset:1536
.LBB41_16:
	s_or_b64 exec, exec, s[4:5]
	v_lshlrev_b32_e32 v1, 2, v0
	v_lshl_add_u32 v6, s2, 9, v1
	v_cmp_gt_i32_e32 vcc, s16, v6
	s_and_saveexec_b64 s[0:1], vcc
	s_cbranch_execz .LBB41_50
; %bb.17:
	s_abs_i32 s0, s18
	v_cvt_f32_u32_e32 v1, s0
	v_mov_b32_e32 v5, 0
	s_cmp_ge_i32 s25, s26
	v_mov_b32_e32 v4, v5
	v_rcp_iflag_f32_e32 v1, v1
	v_mov_b32_e32 v33, v5
	v_mov_b32_e32 v32, v5
	;; [unrolled: 1-line block ×3, first 2 shown]
	v_mul_f32_e32 v1, 0x4f7ffffe, v1
	v_cvt_u32_f32_e32 v1, v1
	v_mov_b32_e32 v17, v5
	v_mov_b32_e32 v35, v5
	;; [unrolled: 1-line block ×3, first 2 shown]
	v_readfirstlane_b32 s1, v1
	v_mov_b32_e32 v38, v5
	v_mov_b32_e32 v37, v5
	;; [unrolled: 1-line block ×20, first 2 shown]
	s_waitcnt lgkmcnt(0)
	s_barrier
	s_cbranch_scc1 .LBB41_22
; %bb.18:
	s_sub_i32 s5, 0, s0
	s_mul_i32 s5, s5, s1
	s_mul_hi_u32 s5, s1, s5
	s_abs_i32 s4, s17
	s_add_i32 s1, s1, s5
	s_ashr_i32 s2, s17, 31
	s_ashr_i32 s3, s18, 31
	s_mul_hi_u32 s1, s4, s1
	s_xor_b32 s2, s2, s3
	s_mul_i32 s3, s1, s0
	s_sub_i32 s3, s4, s3
	s_add_i32 s4, s1, 1
	s_sub_i32 s5, s3, s0
	s_cmp_ge_u32 s3, s0
	s_cselect_b32 s1, s4, s1
	s_cselect_b32 s3, s5, s3
	s_add_i32 s4, s1, 1
	s_cmp_ge_u32 s3, s0
	s_cselect_b32 s0, s4, s1
	s_xor_b32 s0, s0, s2
	s_sub_i32 s4, s0, s2
	v_cvt_f32_u32_e32 v1, s4
	s_bitcmp1_b32 s19, 0
	s_cselect_b64 s[0:1], -1, 0
	s_sub_i32 s2, 0, s4
	v_rcp_iflag_f32_e32 v1, v1
	s_xor_b64 s[0:1], s[0:1], -1
	v_ashrrev_i32_e32 v7, 31, v6
	v_lshrrev_b32_e32 v2, 29, v7
	v_mul_f32_e32 v1, 0x4f7ffffe, v1
	v_cvt_u32_f32_e32 v1, v1
	v_add_u32_e32 v2, v6, v2
	v_ashrrev_i32_e32 v51, 3, v2
	v_cndmask_b32_e64 v60, 0, 1, s[0:1]
	v_readfirstlane_b32 s3, v1
	s_mul_i32 s2, s2, s3
	s_mul_hi_u32 s2, s3, s2
	s_add_i32 s3, s3, s2
	s_mul_hi_u32 s2, s25, s3
	s_mul_i32 s3, s2, s4
	s_sub_i32 s3, s25, s3
	s_add_i32 s5, s2, 1
	s_sub_i32 s6, s3, s4
	s_cmp_ge_u32 s3, s4
	s_cselect_b32 s2, s5, s2
	s_cselect_b32 s3, s6, s3
	s_add_i32 s5, s2, 1
	s_cmp_ge_u32 s3, s4
	s_cselect_b32 s5, s5, s2
	s_mul_i32 s2, s5, s16
	s_ashr_i32 s3, s2, 31
	s_lshr_b32 s3, s3, 29
	s_add_i32 s3, s2, s3
	s_ashr_i32 s3, s3, 3
	v_add_u32_e32 v4, s3, v51
	v_add_u32_e32 v2, s2, v6
	v_ashrrev_i32_e32 v5, 31, v4
	v_ashrrev_i32_e32 v3, 31, v2
	v_lshl_add_u64 v[4:5], v[4:5], 2, s[10:11]
	v_lshl_add_u64 v[2:3], v[2:3], 1, s[12:13]
	global_load_dword v1, v[4:5], off
	s_lshr_b32 s0, s25, 3
	global_load_dwordx2 v[2:3], v[2:3], off
	s_mul_i32 s0, s16, s0
	s_ashr_i32 s1, s0, 31
	s_lshl_b64 s[0:1], s[0:1], 2
	v_lshlrev_b32_e32 v0, 4, v0
	s_add_u32 s0, s8, s0
	v_and_b32_e32 v59, 16, v0
	s_addc_u32 s1, s9, s1
	v_lshl_add_u64 v[8:9], v[6:7], 2, s[0:1]
	s_mov_b32 s18, 0x10001
	v_mov_b32_e32 v58, 0xe400e400
	s_mov_b32 s7, 0xd400
	v_mov_b32_e32 v4, 0
	s_ashr_i32 s17, s16, 31
	s_mov_b32 s6, 0
	s_movk_i32 s19, 0x2c00
	v_mov_b32_e32 v5, v4
	v_mov_b32_e32 v56, v4
	;; [unrolled: 1-line block ×24, first 2 shown]
	s_add_i32 s8, s4, s25
	s_lshl_b64 s[0:1], s[16:17], 4
	s_lshl_b64 s[2:3], s[16:17], 2
	v_mov_b32_e32 v36, v4
	v_mov_b32_e32 v32, v4
	;; [unrolled: 1-line block ×3, first 2 shown]
	s_waitcnt vmcnt(1)
	v_lshrrev_b32_e32 v0, v0, v1
	v_lshrrev_b32_e32 v1, 12, v0
	s_waitcnt vmcnt(0)
	v_cvt_f32_f16_e32 v12, v3
	v_cvt_f32_f16_sdwa v13, v3 dst_sel:DWORD dst_unused:UNUSED_PAD src0_sel:WORD_1
	v_cvt_f32_f16_e32 v10, v2
	v_cvt_f32_f16_sdwa v7, v2 dst_sel:DWORD dst_unused:UNUSED_PAD src0_sel:WORD_1
	v_lshrrev_b32_e32 v2, 8, v0
	v_lshrrev_b32_e32 v3, 4, v0
	v_and_b32_e32 v0, 15, v0
	v_and_b32_e32 v1, 15, v1
	;; [unrolled: 1-line block ×4, first 2 shown]
	v_add_u32_e32 v0, v0, v60
	v_add_u32_e32 v2, v2, v60
	;; [unrolled: 1-line block ×4, first 2 shown]
	v_cvt_f32_ubyte0_e32 v11, v0
	v_mad_u32_u24 v61, v0, s18, v58
	v_cvt_f32_ubyte0_e32 v0, v1
	v_cvt_f32_ubyte0_e32 v14, v2
	v_mad_u32_u24 v64, v1, s18, v58
	v_cvt_f32_ubyte0_e32 v1, v3
	v_cvt_pk_f16_f32 v0, v14, v0
	v_cvt_pk_f16_f32 v1, v11, v1
	v_pk_add_f16 v0, v0, s7 op_sel_hi:[1,0] neg_lo:[1,0] neg_hi:[1,0]
	v_pk_add_f16 v1, v1, s7 op_sel_hi:[1,0] neg_lo:[1,0] neg_hi:[1,0]
	v_mad_u32_u24 v62, v2, s18, v58
	v_mad_u32_u24 v63, v3, s18, v58
	v_mul_u32_u24_sdwa v16, v0, s18 dst_sel:DWORD dst_unused:UNUSED_PAD src0_sel:WORD_0 src1_sel:DWORD
	v_mul_u32_u24_sdwa v15, v0, s18 dst_sel:DWORD dst_unused:UNUSED_PAD src0_sel:WORD_1 src1_sel:DWORD
	v_mul_u32_u24_sdwa v14, v1, s18 dst_sel:DWORD dst_unused:UNUSED_PAD src0_sel:WORD_0 src1_sel:DWORD
	v_mul_u32_u24_sdwa v11, v1, s18 dst_sel:DWORD dst_unused:UNUSED_PAD src0_sel:WORD_1 src1_sel:DWORD
	s_branch .LBB41_20
.LBB41_19:                              ;   in Loop: Header=BB41_20 Depth=1
	global_load_dwordx4 v[24:27], v[8:9], off
	s_add_i32 s9, s6, 0x400
	s_add_i32 s25, s25, 32
	s_waitcnt vmcnt(0)
	v_lshrrev_b32_e32 v2, 8, v24
	v_and_b32_e32 v0, 0xf000f, v24
	v_and_b32_e32 v1, 0xf000f0, v24
	;; [unrolled: 1-line block ×4, first 2 shown]
	v_lshrrev_b32_e32 v20, 8, v25
	v_or_b32_e32 v0, 0x64006400, v0
	v_or_b32_e32 v1, 0x64006400, v1
	;; [unrolled: 1-line block ×4, first 2 shown]
	v_and_b32_e32 v21, 0xf000f, v20
	v_and_b32_e32 v20, 0xf000f0, v20
	v_lshrrev_b32_e32 v24, 8, v26
	v_pk_add_f16 v3, v61, v0
	v_pk_fma_f16 v2, v1, s19, v14 op_sel_hi:[1,0,1]
	v_pk_add_f16 v0, v61, v18
	v_pk_fma_f16 v1, v19, s19, v14 op_sel_hi:[1,0,1]
	v_and_b32_e32 v18, 0xf000f, v25
	v_and_b32_e32 v19, 0xf000f0, v25
	v_or_b32_e32 v21, 0x64006400, v21
	v_or_b32_e32 v22, 0x64006400, v20
	v_and_b32_e32 v25, 0xf000f, v24
	v_and_b32_e32 v24, 0xf000f0, v24
	v_pk_add_f16 v20, v63, v21
	v_pk_fma_f16 v21, v22, s19, v11 op_sel_hi:[1,0,1]
	v_and_b32_e32 v22, 0xf000f, v26
	v_and_b32_e32 v23, 0xf000f0, v26
	v_or_b32_e32 v25, 0x64006400, v25
	v_or_b32_e32 v26, 0x64006400, v24
	v_pk_add_f16 v24, v62, v25
	v_pk_fma_f16 v25, v26, s19, v16 op_sel_hi:[1,0,1]
	v_and_b32_e32 v26, 0xf000f, v27
	v_and_b32_e32 v28, 0xf000f0, v27
	v_lshrrev_b32_e32 v27, 8, v27
	v_and_b32_e32 v29, 0xf000f, v27
	v_and_b32_e32 v27, 0xf000f0, v27
	v_or_b32_e32 v28, 0x64006400, v28
	v_or_b32_e32 v29, 0x64006400, v29
	;; [unrolled: 1-line block ×3, first 2 shown]
	v_pk_fma_f16 v27, v28, s19, v15 op_sel_hi:[1,0,1]
	v_pk_add_f16 v28, v64, v29
	v_pk_fma_f16 v29, v30, s19, v15 op_sel_hi:[1,0,1]
	v_mov_b32_e32 v30, s6
	ds_read2_b32 v[66:67], v30 offset1:1
	ds_read2_b32 v[68:69], v30 offset0:2 offset1:3
	v_or_b32_e32 v18, 0x64006400, v18
	v_or_b32_e32 v19, 0x64006400, v19
	v_pk_add_f16 v18, v63, v18
	s_waitcnt lgkmcnt(1)
	v_pk_fma_f16 v31, v3, v66, 0
	v_pk_fma_f16 v19, v19, s19, v11 op_sel_hi:[1,0,1]
	v_pk_fma_f16 v31, v2, v67, v31
	v_or_b32_e32 v22, 0x64006400, v22
	s_waitcnt lgkmcnt(0)
	v_pk_fma_f16 v31, v0, v68, v31
	v_or_b32_e32 v23, 0x64006400, v23
	v_pk_fma_f16 v31, v1, v69, v31
	v_pk_add_f16 v22, v62, v22
	v_cvt_f32_f16_e32 v65, v31
	v_cvt_f32_f16_sdwa v31, v31 dst_sel:DWORD dst_unused:UNUSED_PAD src0_sel:WORD_1
	v_pk_fma_f16 v23, v23, s19, v16 op_sel_hi:[1,0,1]
	v_or_b32_e32 v26, 0x64006400, v26
	v_pk_add_f16 v26, v64, v26
	v_add_f32_e32 v31, v31, v65
	v_fmac_f32_e32 v56, v31, v10
	v_pk_fma_f16 v31, v18, v66, 0
	s_nop 0
	v_pk_fma_f16 v31, v19, v67, v31
	s_nop 0
	v_pk_fma_f16 v31, v20, v68, v31
	s_nop 0
	v_pk_fma_f16 v31, v21, v69, v31
	s_nop 0
	v_cvt_f32_f16_e32 v65, v31
	v_cvt_f32_f16_sdwa v31, v31 dst_sel:DWORD dst_unused:UNUSED_PAD src0_sel:WORD_1
	v_add_f32_e32 v31, v31, v65
	v_fmac_f32_e32 v57, v31, v7
	v_pk_fma_f16 v31, v22, v66, 0
	s_nop 0
	v_pk_fma_f16 v31, v23, v67, v31
	s_nop 0
	v_pk_fma_f16 v31, v24, v68, v31
	s_nop 0
	v_pk_fma_f16 v31, v25, v69, v31
	s_nop 0
	v_cvt_f32_f16_e32 v65, v31
	v_cvt_f32_f16_sdwa v31, v31 dst_sel:DWORD dst_unused:UNUSED_PAD src0_sel:WORD_1
	v_add_f32_e32 v31, v31, v65
	v_fmac_f32_e32 v54, v31, v12
	v_pk_fma_f16 v31, v26, v66, 0
	s_nop 0
	v_pk_fma_f16 v31, v27, v67, v31
	ds_read2_b32 v[66:67], v30 offset0:64 offset1:65
	v_pk_fma_f16 v31, v28, v68, v31
	s_nop 0
	v_pk_fma_f16 v31, v29, v69, v31
	ds_read2_b32 v[68:69], v30 offset0:66 offset1:67
	v_cvt_f32_f16_e32 v65, v31
	v_cvt_f32_f16_sdwa v31, v31 dst_sel:DWORD dst_unused:UNUSED_PAD src0_sel:WORD_1
	v_add_f32_e32 v31, v31, v65
	v_fmac_f32_e32 v55, v31, v13
	s_waitcnt lgkmcnt(1)
	v_pk_fma_f16 v31, v3, v66, 0
	s_nop 0
	v_pk_fma_f16 v31, v2, v67, v31
	s_waitcnt lgkmcnt(0)
	v_pk_fma_f16 v31, v0, v68, v31
	s_nop 0
	v_pk_fma_f16 v31, v1, v69, v31
	s_nop 0
	v_cvt_f32_f16_e32 v65, v31
	v_cvt_f32_f16_sdwa v31, v31 dst_sel:DWORD dst_unused:UNUSED_PAD src0_sel:WORD_1
	v_add_f32_e32 v31, v31, v65
	v_fmac_f32_e32 v52, v31, v10
	v_pk_fma_f16 v31, v18, v66, 0
	s_nop 0
	v_pk_fma_f16 v31, v19, v67, v31
	s_nop 0
	v_pk_fma_f16 v31, v20, v68, v31
	s_nop 0
	v_pk_fma_f16 v31, v21, v69, v31
	s_nop 0
	v_cvt_f32_f16_e32 v65, v31
	v_cvt_f32_f16_sdwa v31, v31 dst_sel:DWORD dst_unused:UNUSED_PAD src0_sel:WORD_1
	v_add_f32_e32 v31, v31, v65
	v_fmac_f32_e32 v53, v31, v7
	v_pk_fma_f16 v31, v22, v66, 0
	s_nop 0
	v_pk_fma_f16 v31, v23, v67, v31
	s_nop 0
	v_pk_fma_f16 v31, v24, v68, v31
	s_nop 0
	v_pk_fma_f16 v31, v25, v69, v31
	s_nop 0
	v_cvt_f32_f16_e32 v65, v31
	v_cvt_f32_f16_sdwa v31, v31 dst_sel:DWORD dst_unused:UNUSED_PAD src0_sel:WORD_1
	v_add_f32_e32 v31, v31, v65
	v_fmac_f32_e32 v49, v31, v12
	v_pk_fma_f16 v31, v26, v66, 0
	s_nop 0
	v_pk_fma_f16 v31, v27, v67, v31
	ds_read2_b32 v[66:67], v30 offset0:128 offset1:129
	v_pk_fma_f16 v31, v28, v68, v31
	s_nop 0
	v_pk_fma_f16 v31, v29, v69, v31
	ds_read2_b32 v[68:69], v30 offset0:130 offset1:131
	v_cvt_f32_f16_e32 v65, v31
	v_cvt_f32_f16_sdwa v31, v31 dst_sel:DWORD dst_unused:UNUSED_PAD src0_sel:WORD_1
	v_add_f32_e32 v31, v31, v65
	v_fmac_f32_e32 v50, v31, v13
	s_waitcnt lgkmcnt(1)
	v_pk_fma_f16 v31, v3, v66, 0
	s_nop 0
	v_pk_fma_f16 v31, v2, v67, v31
	s_waitcnt lgkmcnt(0)
	v_pk_fma_f16 v31, v0, v68, v31
	s_nop 0
	v_pk_fma_f16 v31, v1, v69, v31
	s_nop 0
	v_cvt_f32_f16_e32 v65, v31
	v_cvt_f32_f16_sdwa v31, v31 dst_sel:DWORD dst_unused:UNUSED_PAD src0_sel:WORD_1
	;; [unrolled: 49-line block ×3, first 2 shown]
	v_add_f32_e32 v31, v31, v65
	v_fmac_f32_e32 v43, v31, v10
	v_pk_fma_f16 v31, v18, v66, 0
	s_nop 0
	v_pk_fma_f16 v31, v19, v67, v31
	s_nop 0
	v_pk_fma_f16 v31, v20, v68, v31
	s_nop 0
	v_pk_fma_f16 v31, v21, v69, v31
	s_nop 0
	v_cvt_f32_f16_e32 v65, v31
	v_cvt_f32_f16_sdwa v31, v31 dst_sel:DWORD dst_unused:UNUSED_PAD src0_sel:WORD_1
	v_add_f32_e32 v31, v31, v65
	v_fmac_f32_e32 v44, v31, v7
	v_pk_fma_f16 v31, v22, v66, 0
	s_nop 0
	v_pk_fma_f16 v31, v23, v67, v31
	s_nop 0
	v_pk_fma_f16 v31, v24, v68, v31
	s_nop 0
	v_pk_fma_f16 v31, v25, v69, v31
	s_nop 0
	v_cvt_f32_f16_e32 v65, v31
	v_cvt_f32_f16_sdwa v31, v31 dst_sel:DWORD dst_unused:UNUSED_PAD src0_sel:WORD_1
	;; [unrolled: 12-line block ×3, first 2 shown]
	v_add_f32_e32 v31, v31, v65
	v_fmac_f32_e32 v42, v31, v13
	v_mov_b32_e32 v31, s9
	ds_read2_b32 v[66:67], v31 offset1:1
	s_add_i32 s9, s6, 0x408
	v_mov_b32_e32 v65, s9
	ds_read2_b32 v[68:69], v65 offset1:1
	s_add_i32 s9, s6, 0x500
	s_waitcnt lgkmcnt(1)
	v_pk_fma_f16 v31, v3, v66, 0
	s_nop 0
	v_pk_fma_f16 v31, v2, v67, v31
	s_waitcnt lgkmcnt(0)
	v_pk_fma_f16 v31, v0, v68, v31
	s_nop 0
	v_pk_fma_f16 v31, v1, v69, v31
	s_nop 0
	v_cvt_f32_f16_e32 v65, v31
	v_cvt_f32_f16_sdwa v31, v31 dst_sel:DWORD dst_unused:UNUSED_PAD src0_sel:WORD_1
	v_add_f32_e32 v31, v31, v65
	v_fmac_f32_e32 v39, v31, v10
	v_pk_fma_f16 v31, v18, v66, 0
	s_nop 0
	v_pk_fma_f16 v31, v19, v67, v31
	s_nop 0
	v_pk_fma_f16 v31, v20, v68, v31
	s_nop 0
	v_pk_fma_f16 v31, v21, v69, v31
	s_nop 0
	v_cvt_f32_f16_e32 v65, v31
	v_cvt_f32_f16_sdwa v31, v31 dst_sel:DWORD dst_unused:UNUSED_PAD src0_sel:WORD_1
	v_add_f32_e32 v31, v31, v65
	v_fmac_f32_e32 v40, v31, v7
	v_pk_fma_f16 v31, v22, v66, 0
	s_nop 0
	v_pk_fma_f16 v31, v23, v67, v31
	s_nop 0
	v_pk_fma_f16 v31, v24, v68, v31
	s_nop 0
	v_pk_fma_f16 v31, v25, v69, v31
	s_nop 0
	v_cvt_f32_f16_e32 v65, v31
	v_cvt_f32_f16_sdwa v31, v31 dst_sel:DWORD dst_unused:UNUSED_PAD src0_sel:WORD_1
	v_add_f32_e32 v31, v31, v65
	v_fmac_f32_e32 v37, v31, v12
	v_pk_fma_f16 v31, v26, v66, 0
	s_nop 0
	v_pk_fma_f16 v31, v27, v67, v31
	s_nop 0
	v_pk_fma_f16 v31, v28, v68, v31
	s_nop 0
	v_pk_fma_f16 v31, v29, v69, v31
	s_nop 0
	v_cvt_f32_f16_e32 v65, v31
	v_cvt_f32_f16_sdwa v31, v31 dst_sel:DWORD dst_unused:UNUSED_PAD src0_sel:WORD_1
	v_add_f32_e32 v31, v31, v65
	v_fmac_f32_e32 v38, v31, v13
	v_mov_b32_e32 v31, s9
	ds_read2_b32 v[66:67], v31 offset1:1
	s_add_i32 s9, s6, 0x508
	v_mov_b32_e32 v65, s9
	ds_read2_b32 v[68:69], v65 offset1:1
	s_add_i32 s9, s6, 0x600
	s_waitcnt lgkmcnt(1)
	v_pk_fma_f16 v31, v3, v66, 0
	s_nop 0
	v_pk_fma_f16 v31, v2, v67, v31
	s_waitcnt lgkmcnt(0)
	v_pk_fma_f16 v31, v0, v68, v31
	s_nop 0
	v_pk_fma_f16 v31, v1, v69, v31
	s_nop 0
	v_cvt_f32_f16_e32 v65, v31
	v_cvt_f32_f16_sdwa v31, v31 dst_sel:DWORD dst_unused:UNUSED_PAD src0_sel:WORD_1
	v_add_f32_e32 v31, v31, v65
	v_fmac_f32_e32 v34, v31, v10
	v_pk_fma_f16 v31, v18, v66, 0
	s_nop 0
	v_pk_fma_f16 v31, v19, v67, v31
	s_nop 0
	v_pk_fma_f16 v31, v20, v68, v31
	s_nop 0
	v_pk_fma_f16 v31, v21, v69, v31
	s_nop 0
	v_cvt_f32_f16_e32 v65, v31
	v_cvt_f32_f16_sdwa v31, v31 dst_sel:DWORD dst_unused:UNUSED_PAD src0_sel:WORD_1
	v_add_f32_e32 v31, v31, v65
	v_fmac_f32_e32 v35, v31, v7
	v_pk_fma_f16 v31, v22, v66, 0
	s_nop 0
	v_pk_fma_f16 v31, v23, v67, v31
	s_nop 0
	v_pk_fma_f16 v31, v24, v68, v31
	s_nop 0
	v_pk_fma_f16 v31, v25, v69, v31
	s_nop 0
	v_cvt_f32_f16_e32 v65, v31
	v_cvt_f32_f16_sdwa v31, v31 dst_sel:DWORD dst_unused:UNUSED_PAD src0_sel:WORD_1
	v_add_f32_e32 v31, v31, v65
	v_fmac_f32_e32 v17, v31, v12
	v_pk_fma_f16 v31, v26, v66, 0
	s_nop 0
	v_pk_fma_f16 v31, v27, v67, v31
	s_nop 0
	v_pk_fma_f16 v31, v28, v68, v31
	s_nop 0
	v_pk_fma_f16 v31, v29, v69, v31
	s_nop 0
	v_cvt_f32_f16_e32 v65, v31
	v_cvt_f32_f16_sdwa v31, v31 dst_sel:DWORD dst_unused:UNUSED_PAD src0_sel:WORD_1
	v_add_f32_e32 v31, v31, v65
	v_fmac_f32_e32 v36, v31, v13
	v_mov_b32_e32 v31, s9
	ds_read2_b32 v[66:67], v31 offset1:1
	s_add_i32 s9, s6, 0x608
	s_waitcnt lgkmcnt(0)
	v_pk_fma_f16 v3, v3, v66, 0
	s_nop 0
	v_pk_fma_f16 v31, v2, v67, v3
	v_mov_b32_e32 v2, s9
	ds_read2_b32 v[2:3], v2 offset1:1
	s_add_i32 s9, s6, 0x410
	s_waitcnt lgkmcnt(0)
	v_pk_fma_f16 v0, v0, v2, v31
	s_nop 0
	v_pk_fma_f16 v0, v1, v3, v0
	s_nop 0
	v_cvt_f32_f16_e32 v1, v0
	v_cvt_f32_f16_sdwa v0, v0 dst_sel:DWORD dst_unused:UNUSED_PAD src0_sel:WORD_1
	v_add_f32_e32 v0, v0, v1
	v_fmac_f32_e32 v32, v0, v10
	v_pk_fma_f16 v0, v18, v66, 0
	s_nop 0
	v_pk_fma_f16 v0, v19, v67, v0
	s_nop 0
	;; [unrolled: 2-line block ×4, first 2 shown]
	v_cvt_f32_f16_e32 v1, v0
	v_cvt_f32_f16_sdwa v0, v0 dst_sel:DWORD dst_unused:UNUSED_PAD src0_sel:WORD_1
	v_add_f32_e32 v0, v0, v1
	v_fmac_f32_e32 v33, v0, v7
	v_pk_fma_f16 v0, v22, v66, 0
	s_nop 0
	v_pk_fma_f16 v0, v23, v67, v0
	s_nop 0
	v_pk_fma_f16 v0, v24, v2, v0
	s_nop 0
	v_pk_fma_f16 v0, v25, v3, v0
	s_nop 0
	v_cvt_f32_f16_e32 v18, v0
	v_cvt_f32_f16_sdwa v20, v0 dst_sel:DWORD dst_unused:UNUSED_PAD src0_sel:WORD_1
	v_pk_fma_f16 v0, v26, v66, 0
	s_nop 0
	v_pk_fma_f16 v0, v27, v67, v0
	s_nop 0
	;; [unrolled: 2-line block ×4, first 2 shown]
	v_cvt_f32_f16_sdwa v21, v0 dst_sel:DWORD dst_unused:UNUSED_PAD src0_sel:WORD_1
	v_cvt_f32_f16_e32 v19, v0
	v_lshl_add_u64 v[0:1], v[8:9], 0, s[2:3]
	global_load_dwordx4 v[22:25], v[0:1], off
	v_lshl_add_u64 v[8:9], v[8:9], 0, s[0:1]
	v_pk_add_f32 v[18:19], v[18:19], v[20:21]
	s_waitcnt vmcnt(0)
	v_and_b32_e32 v2, 0xf000f, v22
	v_and_b32_e32 v3, 0xf000f0, v22
	v_lshrrev_b32_e32 v22, 8, v22
	v_or_b32_e32 v2, 0x64006400, v2
	v_or_b32_e32 v3, 0x64006400, v3
	v_and_b32_e32 v26, 0xf000f, v22
	v_and_b32_e32 v22, 0xf000f0, v22
	v_or_b32_e32 v22, 0x64006400, v22
	v_pk_add_f16 v73, v61, v2
	v_pk_fma_f16 v72, v3, s19, v14 op_sel_hi:[1,0,1]
	v_and_b32_e32 v2, 0xf000f, v23
	v_and_b32_e32 v3, 0xf000f0, v23
	v_pk_fma_f16 v71, v22, s19, v14 op_sel_hi:[1,0,1]
	v_or_b32_e32 v2, 0x64006400, v2
	v_or_b32_e32 v3, 0x64006400, v3
	v_lshrrev_b32_e32 v22, 8, v23
	v_and_b32_e32 v23, 0xf000f, v22
	v_and_b32_e32 v22, 0xf000f0, v22
	v_pk_add_f16 v66, v63, v2
	v_pk_fma_f16 v67, v3, s19, v11 op_sel_hi:[1,0,1]
	v_and_b32_e32 v2, 0xf000f, v24
	v_and_b32_e32 v3, 0xf000f0, v24
	v_or_b32_e32 v22, 0x64006400, v22
	v_or_b32_e32 v2, 0x64006400, v2
	;; [unrolled: 1-line block ×3, first 2 shown]
	v_pk_fma_f16 v69, v22, s19, v11 op_sel_hi:[1,0,1]
	v_lshrrev_b32_e32 v22, 8, v24
	v_pk_add_f16 v24, v62, v2
	v_pk_fma_f16 v29, v3, s19, v16 op_sel_hi:[1,0,1]
	v_and_b32_e32 v2, 0xf000f, v25
	v_and_b32_e32 v3, 0xf000f0, v25
	v_or_b32_e32 v23, 0x64006400, v23
	v_or_b32_e32 v2, 0x64006400, v2
	;; [unrolled: 1-line block ×3, first 2 shown]
	v_pk_add_f16 v68, v63, v23
	v_and_b32_e32 v23, 0xf000f, v22
	v_and_b32_e32 v22, 0xf000f0, v22
	v_pk_add_f16 v27, v64, v2
	v_pk_fma_f16 v28, v3, s19, v15 op_sel_hi:[1,0,1]
	ds_read2_b32 v[2:3], v30 offset0:4 offset1:5
	v_or_b32_e32 v22, 0x64006400, v22
	v_or_b32_e32 v23, 0x64006400, v23
	v_pk_fma_f16 v65, v22, s19, v16 op_sel_hi:[1,0,1]
	v_lshrrev_b32_e32 v22, 8, v25
	v_pk_add_f16 v31, v62, v23
	v_and_b32_e32 v23, 0xf000f, v22
	v_and_b32_e32 v22, 0xf000f0, v22
	v_or_b32_e32 v26, 0x64006400, v26
	v_or_b32_e32 v22, 0x64006400, v22
	v_pk_add_f16 v70, v61, v26
	v_or_b32_e32 v23, 0x64006400, v23
	v_pk_fma_f16 v26, v22, s19, v15 op_sel_hi:[1,0,1]
	s_waitcnt lgkmcnt(0)
	v_pk_fma_f16 v22, v73, v2, 0
	v_pk_add_f16 v25, v64, v23
	v_pk_fma_f16 v74, v72, v3, v22
	ds_read2_b32 v[22:23], v30 offset0:6 offset1:7
	v_pk_fma_f32 v[4:5], v[18:19], v[12:13], v[4:5]
	s_waitcnt lgkmcnt(0)
	v_pk_fma_f16 v74, v70, v22, v74
	s_nop 0
	v_pk_fma_f16 v74, v71, v23, v74
	s_nop 0
	v_cvt_f32_f16_e32 v75, v74
	v_cvt_f32_f16_sdwa v74, v74 dst_sel:DWORD dst_unused:UNUSED_PAD src0_sel:WORD_1
	v_add_f32_e32 v74, v74, v75
	v_fmac_f32_e32 v56, v74, v10
	v_pk_fma_f16 v74, v66, v2, 0
	s_nop 0
	v_pk_fma_f16 v74, v67, v3, v74
	s_nop 0
	v_pk_fma_f16 v74, v68, v22, v74
	s_nop 0
	v_pk_fma_f16 v74, v69, v23, v74
	s_nop 0
	v_cvt_f32_f16_e32 v75, v74
	v_cvt_f32_f16_sdwa v74, v74 dst_sel:DWORD dst_unused:UNUSED_PAD src0_sel:WORD_1
	v_add_f32_e32 v74, v74, v75
	v_fmac_f32_e32 v57, v74, v7
	v_pk_fma_f16 v74, v24, v2, 0
	v_pk_fma_f16 v2, v27, v2, 0
	v_pk_fma_f16 v74, v29, v3, v74
	v_pk_fma_f16 v2, v28, v3, v2
	v_pk_fma_f16 v74, v31, v22, v74
	v_pk_fma_f16 v2, v25, v22, v2
	v_pk_fma_f16 v74, v65, v23, v74
	v_pk_fma_f16 v2, v26, v23, v2
	v_cvt_f32_f16_e32 v75, v74
	v_cvt_f32_f16_e32 v3, v2
	v_cvt_f32_f16_sdwa v2, v2 dst_sel:DWORD dst_unused:UNUSED_PAD src0_sel:WORD_1
	v_cvt_f32_f16_sdwa v74, v74 dst_sel:DWORD dst_unused:UNUSED_PAD src0_sel:WORD_1
	v_add_f32_e32 v2, v2, v3
	v_fmac_f32_e32 v55, v2, v13
	ds_read2_b32 v[2:3], v30 offset0:68 offset1:69
	v_add_f32_e32 v74, v74, v75
	v_fmac_f32_e32 v54, v74, v12
	s_waitcnt lgkmcnt(0)
	v_pk_fma_f16 v22, v73, v2, 0
	s_nop 0
	v_pk_fma_f16 v74, v72, v3, v22
	ds_read2_b32 v[22:23], v30 offset0:70 offset1:71
	s_waitcnt lgkmcnt(0)
	v_pk_fma_f16 v74, v70, v22, v74
	s_nop 0
	v_pk_fma_f16 v74, v71, v23, v74
	s_nop 0
	v_cvt_f32_f16_e32 v75, v74
	v_cvt_f32_f16_sdwa v74, v74 dst_sel:DWORD dst_unused:UNUSED_PAD src0_sel:WORD_1
	v_add_f32_e32 v74, v74, v75
	v_fmac_f32_e32 v52, v74, v10
	v_pk_fma_f16 v74, v66, v2, 0
	s_nop 0
	v_pk_fma_f16 v74, v67, v3, v74
	s_nop 0
	v_pk_fma_f16 v74, v68, v22, v74
	s_nop 0
	v_pk_fma_f16 v74, v69, v23, v74
	s_nop 0
	v_cvt_f32_f16_e32 v75, v74
	v_cvt_f32_f16_sdwa v74, v74 dst_sel:DWORD dst_unused:UNUSED_PAD src0_sel:WORD_1
	v_add_f32_e32 v74, v74, v75
	v_fmac_f32_e32 v53, v74, v7
	v_pk_fma_f16 v74, v24, v2, 0
	v_pk_fma_f16 v2, v27, v2, 0
	v_pk_fma_f16 v74, v29, v3, v74
	v_pk_fma_f16 v2, v28, v3, v2
	v_pk_fma_f16 v74, v31, v22, v74
	v_pk_fma_f16 v2, v25, v22, v2
	v_pk_fma_f16 v74, v65, v23, v74
	v_pk_fma_f16 v2, v26, v23, v2
	v_cvt_f32_f16_e32 v75, v74
	v_cvt_f32_f16_e32 v3, v2
	v_cvt_f32_f16_sdwa v2, v2 dst_sel:DWORD dst_unused:UNUSED_PAD src0_sel:WORD_1
	v_cvt_f32_f16_sdwa v74, v74 dst_sel:DWORD dst_unused:UNUSED_PAD src0_sel:WORD_1
	v_add_f32_e32 v2, v2, v3
	v_fmac_f32_e32 v50, v2, v13
	ds_read2_b32 v[2:3], v30 offset0:132 offset1:133
	v_add_f32_e32 v74, v74, v75
	v_fmac_f32_e32 v49, v74, v12
	s_waitcnt lgkmcnt(0)
	v_pk_fma_f16 v22, v73, v2, 0
	s_nop 0
	v_pk_fma_f16 v74, v72, v3, v22
	ds_read2_b32 v[22:23], v30 offset0:134 offset1:135
	;; [unrolled: 43-line block ×3, first 2 shown]
	s_waitcnt lgkmcnt(0)
	v_pk_fma_f16 v74, v70, v22, v74
	s_nop 0
	v_pk_fma_f16 v74, v71, v23, v74
	s_nop 0
	v_cvt_f32_f16_e32 v75, v74
	v_cvt_f32_f16_sdwa v74, v74 dst_sel:DWORD dst_unused:UNUSED_PAD src0_sel:WORD_1
	v_add_f32_e32 v74, v74, v75
	v_fmac_f32_e32 v43, v74, v10
	v_pk_fma_f16 v74, v66, v2, 0
	s_nop 0
	v_pk_fma_f16 v74, v67, v3, v74
	s_nop 0
	;; [unrolled: 2-line block ×4, first 2 shown]
	v_cvt_f32_f16_e32 v75, v74
	v_cvt_f32_f16_sdwa v74, v74 dst_sel:DWORD dst_unused:UNUSED_PAD src0_sel:WORD_1
	v_add_f32_e32 v74, v74, v75
	v_fmac_f32_e32 v44, v74, v7
	v_pk_fma_f16 v74, v24, v2, 0
	v_pk_fma_f16 v2, v27, v2, 0
	;; [unrolled: 1-line block ×8, first 2 shown]
	v_cvt_f32_f16_e32 v75, v74
	v_cvt_f32_f16_e32 v3, v2
	v_cvt_f32_f16_sdwa v2, v2 dst_sel:DWORD dst_unused:UNUSED_PAD src0_sel:WORD_1
	v_cvt_f32_f16_sdwa v74, v74 dst_sel:DWORD dst_unused:UNUSED_PAD src0_sel:WORD_1
	v_add_f32_e32 v2, v2, v3
	v_fmac_f32_e32 v42, v2, v13
	v_mov_b32_e32 v2, s9
	ds_read2_b32 v[2:3], v2 offset1:1
	v_add_f32_e32 v74, v74, v75
	s_add_i32 s9, s6, 0x418
	v_fmac_f32_e32 v41, v74, v12
	s_waitcnt lgkmcnt(0)
	v_pk_fma_f16 v22, v73, v2, 0
	s_nop 0
	v_pk_fma_f16 v74, v72, v3, v22
	v_mov_b32_e32 v22, s9
	ds_read2_b32 v[22:23], v22 offset1:1
	s_add_i32 s9, s6, 0x510
	s_waitcnt lgkmcnt(0)
	v_pk_fma_f16 v74, v70, v22, v74
	s_nop 0
	v_pk_fma_f16 v74, v71, v23, v74
	s_nop 0
	v_cvt_f32_f16_e32 v75, v74
	v_cvt_f32_f16_sdwa v74, v74 dst_sel:DWORD dst_unused:UNUSED_PAD src0_sel:WORD_1
	v_add_f32_e32 v74, v74, v75
	v_fmac_f32_e32 v39, v74, v10
	v_pk_fma_f16 v74, v66, v2, 0
	s_nop 0
	v_pk_fma_f16 v74, v67, v3, v74
	s_nop 0
	;; [unrolled: 2-line block ×4, first 2 shown]
	v_cvt_f32_f16_e32 v75, v74
	v_cvt_f32_f16_sdwa v74, v74 dst_sel:DWORD dst_unused:UNUSED_PAD src0_sel:WORD_1
	v_add_f32_e32 v74, v74, v75
	v_fmac_f32_e32 v40, v74, v7
	v_pk_fma_f16 v74, v24, v2, 0
	v_pk_fma_f16 v2, v27, v2, 0
	;; [unrolled: 1-line block ×8, first 2 shown]
	v_cvt_f32_f16_e32 v75, v74
	v_cvt_f32_f16_e32 v3, v2
	v_cvt_f32_f16_sdwa v2, v2 dst_sel:DWORD dst_unused:UNUSED_PAD src0_sel:WORD_1
	v_cvt_f32_f16_sdwa v74, v74 dst_sel:DWORD dst_unused:UNUSED_PAD src0_sel:WORD_1
	v_add_f32_e32 v2, v2, v3
	v_fmac_f32_e32 v38, v2, v13
	v_mov_b32_e32 v2, s9
	ds_read2_b32 v[2:3], v2 offset1:1
	v_add_f32_e32 v74, v74, v75
	s_add_i32 s9, s6, 0x518
	v_fmac_f32_e32 v37, v74, v12
	s_waitcnt lgkmcnt(0)
	v_pk_fma_f16 v22, v73, v2, 0
	s_nop 0
	v_pk_fma_f16 v74, v72, v3, v22
	v_mov_b32_e32 v22, s9
	ds_read2_b32 v[22:23], v22 offset1:1
	s_add_i32 s9, s6, 0x610
	s_waitcnt lgkmcnt(0)
	v_pk_fma_f16 v74, v70, v22, v74
	s_nop 0
	v_pk_fma_f16 v74, v71, v23, v74
	s_nop 0
	v_cvt_f32_f16_e32 v75, v74
	v_cvt_f32_f16_sdwa v74, v74 dst_sel:DWORD dst_unused:UNUSED_PAD src0_sel:WORD_1
	v_add_f32_e32 v74, v74, v75
	v_fmac_f32_e32 v34, v74, v10
	v_pk_fma_f16 v74, v66, v2, 0
	s_nop 0
	v_pk_fma_f16 v74, v67, v3, v74
	s_nop 0
	;; [unrolled: 2-line block ×4, first 2 shown]
	v_cvt_f32_f16_e32 v75, v74
	v_cvt_f32_f16_sdwa v74, v74 dst_sel:DWORD dst_unused:UNUSED_PAD src0_sel:WORD_1
	v_add_f32_e32 v74, v74, v75
	v_fmac_f32_e32 v35, v74, v7
	v_pk_fma_f16 v74, v24, v2, 0
	v_pk_fma_f16 v2, v27, v2, 0
	;; [unrolled: 1-line block ×8, first 2 shown]
	v_cvt_f32_f16_e32 v75, v74
	v_cvt_f32_f16_e32 v3, v2
	v_cvt_f32_f16_sdwa v2, v2 dst_sel:DWORD dst_unused:UNUSED_PAD src0_sel:WORD_1
	v_cvt_f32_f16_sdwa v74, v74 dst_sel:DWORD dst_unused:UNUSED_PAD src0_sel:WORD_1
	v_add_f32_e32 v2, v2, v3
	v_add_f32_e32 v74, v74, v75
	v_fmac_f32_e32 v36, v2, v13
	v_mov_b32_e32 v2, s9
	v_fmac_f32_e32 v17, v74, v12
	ds_read2_b32 v[74:75], v2 offset1:1
	s_add_i32 s9, s6, 0x618
	s_waitcnt lgkmcnt(0)
	v_pk_fma_f16 v2, v73, v74, 0
	s_nop 0
	v_pk_fma_f16 v22, v72, v75, v2
	v_mov_b32_e32 v2, s9
	ds_read2_b32 v[2:3], v2 offset1:1
	s_add_i32 s9, s6, 0x420
	s_waitcnt lgkmcnt(0)
	v_pk_fma_f16 v22, v70, v2, v22
	s_nop 0
	v_pk_fma_f16 v22, v71, v3, v22
	s_nop 0
	v_cvt_f32_f16_e32 v23, v22
	v_cvt_f32_f16_sdwa v22, v22 dst_sel:DWORD dst_unused:UNUSED_PAD src0_sel:WORD_1
	v_add_f32_e32 v22, v22, v23
	v_fmac_f32_e32 v32, v22, v10
	v_pk_fma_f16 v22, v66, v74, 0
	s_nop 0
	v_pk_fma_f16 v22, v67, v75, v22
	s_nop 0
	;; [unrolled: 2-line block ×4, first 2 shown]
	v_cvt_f32_f16_e32 v23, v22
	v_cvt_f32_f16_sdwa v22, v22 dst_sel:DWORD dst_unused:UNUSED_PAD src0_sel:WORD_1
	v_add_f32_e32 v22, v22, v23
	v_fmac_f32_e32 v33, v22, v7
	v_pk_fma_f16 v22, v24, v74, 0
	s_nop 0
	v_pk_fma_f16 v22, v29, v75, v22
	s_nop 0
	;; [unrolled: 2-line block ×4, first 2 shown]
	v_cvt_f32_f16_e32 v22, v23
	v_cvt_f32_f16_sdwa v24, v23 dst_sel:DWORD dst_unused:UNUSED_PAD src0_sel:WORD_1
	v_pk_fma_f16 v23, v27, v74, 0
	s_nop 0
	v_pk_fma_f16 v23, v28, v75, v23
	s_nop 0
	;; [unrolled: 2-line block ×3, first 2 shown]
	v_pk_fma_f16 v2, v26, v3, v2
	v_lshl_add_u64 v[26:27], v[0:1], 0, s[2:3]
	v_cvt_f32_f16_sdwa v25, v2 dst_sel:DWORD dst_unused:UNUSED_PAD src0_sel:WORD_1
	v_cvt_f32_f16_e32 v23, v2
	global_load_dwordx4 v[0:3], v[26:27], off
	v_lshl_add_u64 v[26:27], v[26:27], 0, s[2:3]
	v_pk_add_f32 v[18:19], v[22:23], v[24:25]
	s_nop 0
	v_pk_fma_f32 v[4:5], v[18:19], v[12:13], v[4:5]
	s_waitcnt vmcnt(0)
	v_and_b32_e32 v28, 0xf000f, v0
	v_and_b32_e32 v29, 0xf000f0, v0
	v_lshrrev_b32_e32 v0, 8, v0
	v_and_b32_e32 v31, 0xf000f, v0
	v_and_b32_e32 v0, 0xf000f0, v0
	v_or_b32_e32 v28, 0x64006400, v28
	v_or_b32_e32 v65, 0x64006400, v31
	;; [unrolled: 1-line block ×3, first 2 shown]
	v_pk_add_f16 v31, v61, v28
	v_pk_add_f16 v0, v61, v65
	v_pk_fma_f16 v28, v66, s19, v14 op_sel_hi:[1,0,1]
	v_and_b32_e32 v65, 0xf000f, v1
	v_and_b32_e32 v66, 0xf000f0, v1
	v_lshrrev_b32_e32 v1, 8, v1
	v_and_b32_e32 v67, 0xf000f, v1
	v_and_b32_e32 v1, 0xf000f0, v1
	v_or_b32_e32 v65, 0x64006400, v65
	v_or_b32_e32 v66, 0x64006400, v66
	;; [unrolled: 1-line block ×4, first 2 shown]
	v_pk_add_f16 v1, v63, v65
	v_pk_fma_f16 v65, v66, s19, v11 op_sel_hi:[1,0,1]
	v_pk_add_f16 v66, v63, v67
	v_pk_fma_f16 v67, v68, s19, v11 op_sel_hi:[1,0,1]
	v_and_b32_e32 v68, 0xf000f, v2
	v_and_b32_e32 v69, 0xf000f0, v2
	v_lshrrev_b32_e32 v2, 8, v2
	v_and_b32_e32 v70, 0xf000f, v2
	v_and_b32_e32 v2, 0xf000f0, v2
	v_or_b32_e32 v68, 0x64006400, v68
	v_or_b32_e32 v69, 0x64006400, v69
	;; [unrolled: 1-line block ×4, first 2 shown]
	v_pk_add_f16 v2, v62, v68
	v_pk_fma_f16 v68, v69, s19, v16 op_sel_hi:[1,0,1]
	v_pk_add_f16 v69, v62, v70
	v_pk_fma_f16 v70, v71, s19, v16 op_sel_hi:[1,0,1]
	v_and_b32_e32 v71, 0xf000f, v3
	v_and_b32_e32 v72, 0xf000f0, v3
	v_lshrrev_b32_e32 v3, 8, v3
	v_and_b32_e32 v73, 0xf000f, v3
	v_or_b32_e32 v72, 0x64006400, v72
	v_or_b32_e32 v73, 0x64006400, v73
	v_pk_fma_f16 v76, v72, s19, v15 op_sel_hi:[1,0,1]
	v_pk_add_f16 v77, v64, v73
	ds_read2_b32 v[72:73], v30 offset0:8 offset1:9
	v_or_b32_e32 v29, 0x64006400, v29
	v_pk_fma_f16 v29, v29, s19, v14 op_sel_hi:[1,0,1]
	v_or_b32_e32 v71, 0x64006400, v71
	v_pk_add_f16 v71, v64, v71
	s_waitcnt lgkmcnt(0)
	v_pk_fma_f16 v74, v31, v72, 0
	v_and_b32_e32 v3, 0xf000f0, v3
	v_pk_fma_f16 v78, v29, v73, v74
	ds_read2_b32 v[74:75], v30 offset0:10 offset1:11
	v_or_b32_e32 v3, 0x64006400, v3
	v_pk_fma_f16 v3, v3, s19, v15 op_sel_hi:[1,0,1]
	s_waitcnt lgkmcnt(0)
	v_pk_fma_f16 v78, v0, v74, v78
	s_nop 0
	v_pk_fma_f16 v78, v28, v75, v78
	s_nop 0
	v_cvt_f32_f16_e32 v79, v78
	v_cvt_f32_f16_sdwa v78, v78 dst_sel:DWORD dst_unused:UNUSED_PAD src0_sel:WORD_1
	v_add_f32_e32 v78, v78, v79
	v_fmac_f32_e32 v56, v78, v10
	v_pk_fma_f16 v78, v1, v72, 0
	s_nop 0
	v_pk_fma_f16 v78, v65, v73, v78
	s_nop 0
	v_pk_fma_f16 v78, v66, v74, v78
	s_nop 0
	v_pk_fma_f16 v78, v67, v75, v78
	s_nop 0
	v_cvt_f32_f16_e32 v79, v78
	v_cvt_f32_f16_sdwa v78, v78 dst_sel:DWORD dst_unused:UNUSED_PAD src0_sel:WORD_1
	v_add_f32_e32 v78, v78, v79
	v_fmac_f32_e32 v57, v78, v7
	v_pk_fma_f16 v78, v2, v72, 0
	v_pk_fma_f16 v72, v71, v72, 0
	v_pk_fma_f16 v78, v68, v73, v78
	v_pk_fma_f16 v72, v76, v73, v72
	v_pk_fma_f16 v78, v69, v74, v78
	v_pk_fma_f16 v72, v77, v74, v72
	v_pk_fma_f16 v78, v70, v75, v78
	v_pk_fma_f16 v72, v3, v75, v72
	v_cvt_f32_f16_e32 v79, v78
	v_cvt_f32_f16_e32 v73, v72
	v_cvt_f32_f16_sdwa v72, v72 dst_sel:DWORD dst_unused:UNUSED_PAD src0_sel:WORD_1
	v_cvt_f32_f16_sdwa v78, v78 dst_sel:DWORD dst_unused:UNUSED_PAD src0_sel:WORD_1
	v_add_f32_e32 v72, v72, v73
	v_fmac_f32_e32 v55, v72, v13
	ds_read2_b32 v[72:73], v30 offset0:72 offset1:73
	v_add_f32_e32 v78, v78, v79
	v_fmac_f32_e32 v54, v78, v12
	s_waitcnt lgkmcnt(0)
	v_pk_fma_f16 v74, v31, v72, 0
	s_nop 0
	v_pk_fma_f16 v78, v29, v73, v74
	ds_read2_b32 v[74:75], v30 offset0:74 offset1:75
	s_waitcnt lgkmcnt(0)
	v_pk_fma_f16 v78, v0, v74, v78
	s_nop 0
	v_pk_fma_f16 v78, v28, v75, v78
	s_nop 0
	v_cvt_f32_f16_e32 v79, v78
	v_cvt_f32_f16_sdwa v78, v78 dst_sel:DWORD dst_unused:UNUSED_PAD src0_sel:WORD_1
	v_add_f32_e32 v78, v78, v79
	v_fmac_f32_e32 v52, v78, v10
	v_pk_fma_f16 v78, v1, v72, 0
	s_nop 0
	v_pk_fma_f16 v78, v65, v73, v78
	s_nop 0
	v_pk_fma_f16 v78, v66, v74, v78
	s_nop 0
	v_pk_fma_f16 v78, v67, v75, v78
	s_nop 0
	v_cvt_f32_f16_e32 v79, v78
	v_cvt_f32_f16_sdwa v78, v78 dst_sel:DWORD dst_unused:UNUSED_PAD src0_sel:WORD_1
	v_add_f32_e32 v78, v78, v79
	v_fmac_f32_e32 v53, v78, v7
	v_pk_fma_f16 v78, v2, v72, 0
	v_pk_fma_f16 v72, v71, v72, 0
	v_pk_fma_f16 v78, v68, v73, v78
	v_pk_fma_f16 v72, v76, v73, v72
	v_pk_fma_f16 v78, v69, v74, v78
	v_pk_fma_f16 v72, v77, v74, v72
	v_pk_fma_f16 v78, v70, v75, v78
	v_pk_fma_f16 v72, v3, v75, v72
	v_cvt_f32_f16_e32 v79, v78
	v_cvt_f32_f16_e32 v73, v72
	v_cvt_f32_f16_sdwa v72, v72 dst_sel:DWORD dst_unused:UNUSED_PAD src0_sel:WORD_1
	v_cvt_f32_f16_sdwa v78, v78 dst_sel:DWORD dst_unused:UNUSED_PAD src0_sel:WORD_1
	v_add_f32_e32 v72, v72, v73
	v_fmac_f32_e32 v50, v72, v13
	ds_read2_b32 v[72:73], v30 offset0:136 offset1:137
	v_add_f32_e32 v78, v78, v79
	v_fmac_f32_e32 v49, v78, v12
	s_waitcnt lgkmcnt(0)
	v_pk_fma_f16 v74, v31, v72, 0
	s_nop 0
	v_pk_fma_f16 v78, v29, v73, v74
	ds_read2_b32 v[74:75], v30 offset0:138 offset1:139
	;; [unrolled: 43-line block ×3, first 2 shown]
	s_waitcnt lgkmcnt(0)
	v_pk_fma_f16 v78, v0, v74, v78
	s_nop 0
	v_pk_fma_f16 v78, v28, v75, v78
	s_nop 0
	v_cvt_f32_f16_e32 v79, v78
	v_cvt_f32_f16_sdwa v78, v78 dst_sel:DWORD dst_unused:UNUSED_PAD src0_sel:WORD_1
	v_add_f32_e32 v78, v78, v79
	v_fmac_f32_e32 v43, v78, v10
	v_pk_fma_f16 v78, v1, v72, 0
	s_nop 0
	v_pk_fma_f16 v78, v65, v73, v78
	s_nop 0
	;; [unrolled: 2-line block ×4, first 2 shown]
	v_cvt_f32_f16_e32 v79, v78
	v_cvt_f32_f16_sdwa v78, v78 dst_sel:DWORD dst_unused:UNUSED_PAD src0_sel:WORD_1
	v_add_f32_e32 v78, v78, v79
	v_fmac_f32_e32 v44, v78, v7
	v_pk_fma_f16 v78, v2, v72, 0
	v_pk_fma_f16 v72, v71, v72, 0
	;; [unrolled: 1-line block ×8, first 2 shown]
	v_cvt_f32_f16_e32 v79, v78
	v_cvt_f32_f16_e32 v73, v72
	v_cvt_f32_f16_sdwa v72, v72 dst_sel:DWORD dst_unused:UNUSED_PAD src0_sel:WORD_1
	v_cvt_f32_f16_sdwa v78, v78 dst_sel:DWORD dst_unused:UNUSED_PAD src0_sel:WORD_1
	v_add_f32_e32 v72, v72, v73
	v_fmac_f32_e32 v42, v72, v13
	v_mov_b32_e32 v72, s9
	ds_read2_b32 v[72:73], v72 offset1:1
	v_add_f32_e32 v78, v78, v79
	s_add_i32 s9, s6, 0x428
	v_fmac_f32_e32 v41, v78, v12
	s_waitcnt lgkmcnt(0)
	v_pk_fma_f16 v74, v31, v72, 0
	s_nop 0
	v_pk_fma_f16 v78, v29, v73, v74
	v_mov_b32_e32 v74, s9
	ds_read2_b32 v[74:75], v74 offset1:1
	s_add_i32 s9, s6, 0x520
	s_waitcnt lgkmcnt(0)
	v_pk_fma_f16 v78, v0, v74, v78
	s_nop 0
	v_pk_fma_f16 v78, v28, v75, v78
	s_nop 0
	v_cvt_f32_f16_e32 v79, v78
	v_cvt_f32_f16_sdwa v78, v78 dst_sel:DWORD dst_unused:UNUSED_PAD src0_sel:WORD_1
	v_add_f32_e32 v78, v78, v79
	v_fmac_f32_e32 v39, v78, v10
	v_pk_fma_f16 v78, v1, v72, 0
	s_nop 0
	v_pk_fma_f16 v78, v65, v73, v78
	s_nop 0
	;; [unrolled: 2-line block ×4, first 2 shown]
	v_cvt_f32_f16_e32 v79, v78
	v_cvt_f32_f16_sdwa v78, v78 dst_sel:DWORD dst_unused:UNUSED_PAD src0_sel:WORD_1
	v_add_f32_e32 v78, v78, v79
	v_fmac_f32_e32 v40, v78, v7
	v_pk_fma_f16 v78, v2, v72, 0
	v_pk_fma_f16 v72, v71, v72, 0
	;; [unrolled: 1-line block ×8, first 2 shown]
	v_cvt_f32_f16_e32 v79, v78
	v_cvt_f32_f16_e32 v73, v72
	v_cvt_f32_f16_sdwa v72, v72 dst_sel:DWORD dst_unused:UNUSED_PAD src0_sel:WORD_1
	v_cvt_f32_f16_sdwa v78, v78 dst_sel:DWORD dst_unused:UNUSED_PAD src0_sel:WORD_1
	v_add_f32_e32 v72, v72, v73
	v_fmac_f32_e32 v38, v72, v13
	v_mov_b32_e32 v72, s9
	ds_read2_b32 v[72:73], v72 offset1:1
	v_add_f32_e32 v78, v78, v79
	s_add_i32 s9, s6, 0x528
	v_fmac_f32_e32 v37, v78, v12
	s_waitcnt lgkmcnt(0)
	v_pk_fma_f16 v74, v31, v72, 0
	s_nop 0
	v_pk_fma_f16 v78, v29, v73, v74
	v_mov_b32_e32 v74, s9
	ds_read2_b32 v[74:75], v74 offset1:1
	s_add_i32 s9, s6, 0x620
	s_waitcnt lgkmcnt(0)
	v_pk_fma_f16 v78, v0, v74, v78
	s_nop 0
	v_pk_fma_f16 v78, v28, v75, v78
	s_nop 0
	v_cvt_f32_f16_e32 v79, v78
	v_cvt_f32_f16_sdwa v78, v78 dst_sel:DWORD dst_unused:UNUSED_PAD src0_sel:WORD_1
	v_add_f32_e32 v78, v78, v79
	v_fmac_f32_e32 v34, v78, v10
	v_pk_fma_f16 v78, v1, v72, 0
	s_nop 0
	v_pk_fma_f16 v78, v65, v73, v78
	s_nop 0
	;; [unrolled: 2-line block ×4, first 2 shown]
	v_cvt_f32_f16_e32 v79, v78
	v_cvt_f32_f16_sdwa v78, v78 dst_sel:DWORD dst_unused:UNUSED_PAD src0_sel:WORD_1
	v_add_f32_e32 v78, v78, v79
	v_fmac_f32_e32 v35, v78, v7
	v_pk_fma_f16 v78, v2, v72, 0
	v_pk_fma_f16 v72, v71, v72, 0
	v_pk_fma_f16 v78, v68, v73, v78
	v_pk_fma_f16 v72, v76, v73, v72
	v_pk_fma_f16 v78, v69, v74, v78
	v_pk_fma_f16 v72, v77, v74, v72
	v_pk_fma_f16 v78, v70, v75, v78
	v_pk_fma_f16 v72, v3, v75, v72
	v_cvt_f32_f16_e32 v79, v78
	v_cvt_f32_f16_e32 v73, v72
	v_cvt_f32_f16_sdwa v72, v72 dst_sel:DWORD dst_unused:UNUSED_PAD src0_sel:WORD_1
	v_cvt_f32_f16_sdwa v78, v78 dst_sel:DWORD dst_unused:UNUSED_PAD src0_sel:WORD_1
	v_add_f32_e32 v72, v72, v73
	v_fmac_f32_e32 v36, v72, v13
	v_mov_b32_e32 v72, s9
	ds_read2_b32 v[72:73], v72 offset1:1
	s_add_i32 s9, s6, 0x628
	v_add_f32_e32 v78, v78, v79
	v_fmac_f32_e32 v17, v78, v12
	s_waitcnt lgkmcnt(0)
	v_pk_fma_f16 v31, v31, v72, 0
	s_nop 0
	v_pk_fma_f16 v29, v29, v73, v31
	v_mov_b32_e32 v31, s9
	ds_read2_b32 v[74:75], v31 offset1:1
	s_add_i32 s9, s6, 0x430
	s_waitcnt lgkmcnt(0)
	v_pk_fma_f16 v0, v0, v74, v29
	s_nop 0
	v_pk_fma_f16 v0, v28, v75, v0
	s_nop 0
	v_cvt_f32_f16_e32 v28, v0
	v_cvt_f32_f16_sdwa v0, v0 dst_sel:DWORD dst_unused:UNUSED_PAD src0_sel:WORD_1
	v_add_f32_e32 v0, v0, v28
	global_load_dwordx4 v[26:29], v[26:27], off
	v_fmac_f32_e32 v32, v0, v10
	v_pk_fma_f16 v0, v1, v72, 0
	s_waitcnt vmcnt(0)
	v_and_b32_e32 v31, 0xf000f, v26
	v_pk_fma_f16 v0, v65, v73, v0
	v_and_b32_e32 v65, 0xf000f0, v26
	v_pk_fma_f16 v0, v66, v74, v0
	v_lshrrev_b32_e32 v26, 8, v26
	v_pk_fma_f16 v0, v67, v75, v0
	v_and_b32_e32 v66, 0xf000f, v26
	v_cvt_f32_f16_e32 v1, v0
	v_cvt_f32_f16_sdwa v0, v0 dst_sel:DWORD dst_unused:UNUSED_PAD src0_sel:WORD_1
	v_and_b32_e32 v26, 0xf000f0, v26
	v_or_b32_e32 v31, 0x64006400, v31
	v_or_b32_e32 v65, 0x64006400, v65
	v_add_f32_e32 v0, v0, v1
	v_fmac_f32_e32 v33, v0, v7
	v_pk_fma_f16 v0, v2, v72, 0
	v_or_b32_e32 v26, 0x64006400, v26
	v_pk_fma_f16 v0, v68, v73, v0
	v_or_b32_e32 v66, 0x64006400, v66
	v_pk_fma_f16 v0, v69, v74, v0
	v_pk_add_f16 v79, v61, v31
	v_pk_fma_f16 v1, v70, v75, v0
	v_pk_fma_f16 v31, v65, s19, v14 op_sel_hi:[1,0,1]
	v_cvt_f32_f16_e32 v0, v1
	v_cvt_f32_f16_sdwa v2, v1 dst_sel:DWORD dst_unused:UNUSED_PAD src0_sel:WORD_1
	v_pk_fma_f16 v1, v71, v72, 0
	v_pk_fma_f16 v78, v26, s19, v14 op_sel_hi:[1,0,1]
	v_pk_fma_f16 v1, v76, v73, v1
	v_and_b32_e32 v26, 0xf000f, v27
	v_and_b32_e32 v65, 0xf000f0, v27
	v_lshrrev_b32_e32 v27, 8, v27
	v_pk_fma_f16 v1, v77, v74, v1
	v_pk_add_f16 v77, v61, v66
	v_and_b32_e32 v66, 0xf000f, v27
	v_and_b32_e32 v27, 0xf000f0, v27
	v_or_b32_e32 v26, 0x64006400, v26
	v_or_b32_e32 v27, 0x64006400, v27
	v_pk_add_f16 v73, v63, v26
	v_pk_fma_f16 v76, v27, s19, v11 op_sel_hi:[1,0,1]
	v_and_b32_e32 v26, 0xf000f, v28
	v_and_b32_e32 v27, 0xf000f0, v28
	v_or_b32_e32 v26, 0x64006400, v26
	v_or_b32_e32 v27, 0x64006400, v27
	v_pk_add_f16 v67, v62, v26
	v_pk_fma_f16 v68, v27, s19, v16 op_sel_hi:[1,0,1]
	v_and_b32_e32 v26, 0xf000f, v29
	v_and_b32_e32 v27, 0xf000f0, v29
	v_or_b32_e32 v65, 0x64006400, v65
	v_lshrrev_b32_e32 v28, 8, v28
	v_or_b32_e32 v26, 0x64006400, v26
	v_or_b32_e32 v27, 0x64006400, v27
	v_pk_fma_f16 v74, v65, s19, v11 op_sel_hi:[1,0,1]
	v_and_b32_e32 v65, 0xf000f, v28
	v_and_b32_e32 v28, 0xf000f0, v28
	v_pk_add_f16 v71, v64, v26
	v_pk_fma_f16 v72, v27, s19, v15 op_sel_hi:[1,0,1]
	ds_read2_b32 v[26:27], v30 offset0:12 offset1:13
	v_or_b32_e32 v28, 0x64006400, v28
	v_pk_fma_f16 v70, v28, s19, v16 op_sel_hi:[1,0,1]
	v_lshrrev_b32_e32 v28, 8, v29
	v_and_b32_e32 v29, 0xf000f, v28
	v_and_b32_e32 v28, 0xf000f0, v28
	v_or_b32_e32 v66, 0x64006400, v66
	v_or_b32_e32 v28, 0x64006400, v28
	v_pk_fma_f16 v1, v3, v75, v1
	v_pk_add_f16 v75, v63, v66
	v_or_b32_e32 v65, 0x64006400, v65
	v_or_b32_e32 v29, 0x64006400, v29
	v_pk_fma_f16 v66, v28, s19, v15 op_sel_hi:[1,0,1]
	s_waitcnt lgkmcnt(0)
	v_pk_fma_f16 v28, v79, v26, 0
	v_pk_add_f16 v69, v62, v65
	v_pk_add_f16 v65, v64, v29
	v_pk_fma_f16 v80, v31, v27, v28
	ds_read2_b32 v[28:29], v30 offset0:14 offset1:15
	v_cvt_f32_f16_sdwa v3, v1 dst_sel:DWORD dst_unused:UNUSED_PAD src0_sel:WORD_1
	v_cvt_f32_f16_e32 v1, v1
	s_waitcnt lgkmcnt(0)
	v_pk_fma_f16 v80, v77, v28, v80
	s_nop 0
	v_pk_fma_f16 v80, v78, v29, v80
	v_pk_add_f32 v[0:1], v[0:1], v[2:3]
	v_cvt_f32_f16_e32 v81, v80
	v_cvt_f32_f16_sdwa v80, v80 dst_sel:DWORD dst_unused:UNUSED_PAD src0_sel:WORD_1
	v_pk_fma_f32 v[0:1], v[0:1], v[12:13], v[4:5]
	v_add_f32_e32 v80, v80, v81
	v_fmac_f32_e32 v56, v80, v10
	v_pk_fma_f16 v80, v73, v26, 0
	s_nop 0
	v_pk_fma_f16 v80, v74, v27, v80
	s_nop 0
	;; [unrolled: 2-line block ×4, first 2 shown]
	v_cvt_f32_f16_e32 v81, v80
	v_cvt_f32_f16_sdwa v80, v80 dst_sel:DWORD dst_unused:UNUSED_PAD src0_sel:WORD_1
	v_add_f32_e32 v80, v80, v81
	v_fmac_f32_e32 v57, v80, v7
	v_pk_fma_f16 v80, v67, v26, 0
	v_pk_fma_f16 v26, v71, v26, 0
	;; [unrolled: 1-line block ×8, first 2 shown]
	v_cvt_f32_f16_e32 v81, v80
	v_cvt_f32_f16_e32 v27, v26
	v_cvt_f32_f16_sdwa v26, v26 dst_sel:DWORD dst_unused:UNUSED_PAD src0_sel:WORD_1
	v_cvt_f32_f16_sdwa v80, v80 dst_sel:DWORD dst_unused:UNUSED_PAD src0_sel:WORD_1
	v_add_f32_e32 v26, v26, v27
	v_fmac_f32_e32 v55, v26, v13
	ds_read2_b32 v[26:27], v30 offset0:76 offset1:77
	v_add_f32_e32 v80, v80, v81
	v_fmac_f32_e32 v54, v80, v12
	s_waitcnt lgkmcnt(0)
	v_pk_fma_f16 v28, v79, v26, 0
	s_nop 0
	v_pk_fma_f16 v80, v31, v27, v28
	ds_read2_b32 v[28:29], v30 offset0:78 offset1:79
	s_waitcnt lgkmcnt(0)
	v_pk_fma_f16 v80, v77, v28, v80
	s_nop 0
	v_pk_fma_f16 v80, v78, v29, v80
	s_nop 0
	v_cvt_f32_f16_e32 v81, v80
	v_cvt_f32_f16_sdwa v80, v80 dst_sel:DWORD dst_unused:UNUSED_PAD src0_sel:WORD_1
	v_add_f32_e32 v80, v80, v81
	v_fmac_f32_e32 v52, v80, v10
	v_pk_fma_f16 v80, v73, v26, 0
	s_nop 0
	v_pk_fma_f16 v80, v74, v27, v80
	s_nop 0
	v_pk_fma_f16 v80, v75, v28, v80
	s_nop 0
	v_pk_fma_f16 v80, v76, v29, v80
	s_nop 0
	v_cvt_f32_f16_e32 v81, v80
	v_cvt_f32_f16_sdwa v80, v80 dst_sel:DWORD dst_unused:UNUSED_PAD src0_sel:WORD_1
	v_add_f32_e32 v80, v80, v81
	v_fmac_f32_e32 v53, v80, v7
	v_pk_fma_f16 v80, v67, v26, 0
	v_pk_fma_f16 v26, v71, v26, 0
	;; [unrolled: 1-line block ×8, first 2 shown]
	v_cvt_f32_f16_e32 v81, v80
	v_cvt_f32_f16_e32 v27, v26
	v_cvt_f32_f16_sdwa v26, v26 dst_sel:DWORD dst_unused:UNUSED_PAD src0_sel:WORD_1
	v_cvt_f32_f16_sdwa v80, v80 dst_sel:DWORD dst_unused:UNUSED_PAD src0_sel:WORD_1
	v_add_f32_e32 v26, v26, v27
	v_fmac_f32_e32 v50, v26, v13
	ds_read2_b32 v[26:27], v30 offset0:140 offset1:141
	v_add_f32_e32 v80, v80, v81
	v_fmac_f32_e32 v49, v80, v12
	s_waitcnt lgkmcnt(0)
	v_pk_fma_f16 v28, v79, v26, 0
	s_nop 0
	v_pk_fma_f16 v80, v31, v27, v28
	ds_read2_b32 v[28:29], v30 offset0:142 offset1:143
	s_waitcnt lgkmcnt(0)
	v_pk_fma_f16 v80, v77, v28, v80
	s_nop 0
	v_pk_fma_f16 v80, v78, v29, v80
	s_nop 0
	v_cvt_f32_f16_e32 v81, v80
	v_cvt_f32_f16_sdwa v80, v80 dst_sel:DWORD dst_unused:UNUSED_PAD src0_sel:WORD_1
	v_add_f32_e32 v80, v80, v81
	v_fmac_f32_e32 v47, v80, v10
	v_pk_fma_f16 v80, v73, v26, 0
	s_nop 0
	v_pk_fma_f16 v80, v74, v27, v80
	s_nop 0
	;; [unrolled: 2-line block ×4, first 2 shown]
	v_cvt_f32_f16_e32 v81, v80
	v_cvt_f32_f16_sdwa v80, v80 dst_sel:DWORD dst_unused:UNUSED_PAD src0_sel:WORD_1
	v_add_f32_e32 v80, v80, v81
	v_fmac_f32_e32 v48, v80, v7
	v_pk_fma_f16 v80, v67, v26, 0
	v_pk_fma_f16 v26, v71, v26, 0
	;; [unrolled: 1-line block ×8, first 2 shown]
	ds_read2_b32 v[28:29], v30 offset0:204 offset1:205
	v_cvt_f32_f16_e32 v27, v26
	v_cvt_f32_f16_sdwa v26, v26 dst_sel:DWORD dst_unused:UNUSED_PAD src0_sel:WORD_1
	v_cvt_f32_f16_e32 v81, v80
	v_cvt_f32_f16_sdwa v80, v80 dst_sel:DWORD dst_unused:UNUSED_PAD src0_sel:WORD_1
	v_add_f32_e32 v26, v26, v27
	v_fmac_f32_e32 v46, v26, v13
	v_add_f32_e32 v80, v80, v81
	s_waitcnt lgkmcnt(0)
	v_pk_fma_f16 v26, v79, v28, 0
	v_fmac_f32_e32 v45, v80, v12
	v_pk_fma_f16 v80, v31, v29, v26
	ds_read2_b32 v[26:27], v30 offset0:206 offset1:207
	s_waitcnt lgkmcnt(0)
	v_pk_fma_f16 v30, v77, v26, v80
	s_nop 0
	v_pk_fma_f16 v30, v78, v27, v30
	s_nop 0
	v_cvt_f32_f16_e32 v80, v30
	v_cvt_f32_f16_sdwa v30, v30 dst_sel:DWORD dst_unused:UNUSED_PAD src0_sel:WORD_1
	v_add_f32_e32 v30, v30, v80
	v_fmac_f32_e32 v43, v30, v10
	v_pk_fma_f16 v30, v73, v28, 0
	s_nop 0
	v_pk_fma_f16 v30, v74, v29, v30
	s_nop 0
	;; [unrolled: 2-line block ×4, first 2 shown]
	v_cvt_f32_f16_e32 v80, v30
	v_cvt_f32_f16_sdwa v30, v30 dst_sel:DWORD dst_unused:UNUSED_PAD src0_sel:WORD_1
	v_add_f32_e32 v30, v30, v80
	v_fmac_f32_e32 v44, v30, v7
	v_pk_fma_f16 v30, v67, v28, 0
	v_pk_fma_f16 v28, v71, v28, 0
	;; [unrolled: 1-line block ×8, first 2 shown]
	v_cvt_f32_f16_e32 v80, v30
	v_cvt_f32_f16_e32 v27, v26
	v_cvt_f32_f16_sdwa v26, v26 dst_sel:DWORD dst_unused:UNUSED_PAD src0_sel:WORD_1
	v_cvt_f32_f16_sdwa v30, v30 dst_sel:DWORD dst_unused:UNUSED_PAD src0_sel:WORD_1
	v_add_f32_e32 v26, v26, v27
	v_fmac_f32_e32 v42, v26, v13
	v_mov_b32_e32 v26, s9
	ds_read2_b32 v[26:27], v26 offset1:1
	v_add_f32_e32 v30, v30, v80
	s_add_i32 s9, s6, 0x438
	v_fmac_f32_e32 v41, v30, v12
	s_waitcnt lgkmcnt(0)
	v_pk_fma_f16 v28, v79, v26, 0
	s_nop 0
	v_pk_fma_f16 v30, v31, v27, v28
	v_mov_b32_e32 v28, s9
	ds_read2_b32 v[28:29], v28 offset1:1
	s_add_i32 s9, s6, 0x530
	s_waitcnt lgkmcnt(0)
	v_pk_fma_f16 v30, v77, v28, v30
	s_nop 0
	v_pk_fma_f16 v30, v78, v29, v30
	s_nop 0
	v_cvt_f32_f16_e32 v80, v30
	v_cvt_f32_f16_sdwa v30, v30 dst_sel:DWORD dst_unused:UNUSED_PAD src0_sel:WORD_1
	v_add_f32_e32 v30, v30, v80
	v_fmac_f32_e32 v39, v30, v10
	v_pk_fma_f16 v30, v73, v26, 0
	s_nop 0
	v_pk_fma_f16 v30, v74, v27, v30
	s_nop 0
	;; [unrolled: 2-line block ×4, first 2 shown]
	v_cvt_f32_f16_e32 v80, v30
	v_cvt_f32_f16_sdwa v30, v30 dst_sel:DWORD dst_unused:UNUSED_PAD src0_sel:WORD_1
	v_add_f32_e32 v30, v30, v80
	v_fmac_f32_e32 v40, v30, v7
	v_pk_fma_f16 v30, v67, v26, 0
	v_pk_fma_f16 v26, v71, v26, 0
	;; [unrolled: 1-line block ×8, first 2 shown]
	v_cvt_f32_f16_e32 v80, v30
	v_cvt_f32_f16_e32 v27, v26
	v_cvt_f32_f16_sdwa v26, v26 dst_sel:DWORD dst_unused:UNUSED_PAD src0_sel:WORD_1
	v_cvt_f32_f16_sdwa v30, v30 dst_sel:DWORD dst_unused:UNUSED_PAD src0_sel:WORD_1
	v_add_f32_e32 v26, v26, v27
	v_fmac_f32_e32 v38, v26, v13
	v_mov_b32_e32 v26, s9
	ds_read2_b32 v[26:27], v26 offset1:1
	v_add_f32_e32 v30, v30, v80
	s_add_i32 s9, s6, 0x538
	v_fmac_f32_e32 v37, v30, v12
	s_waitcnt lgkmcnt(0)
	v_pk_fma_f16 v28, v79, v26, 0
	s_nop 0
	v_pk_fma_f16 v30, v31, v27, v28
	v_mov_b32_e32 v28, s9
	ds_read2_b32 v[28:29], v28 offset1:1
	s_add_i32 s9, s6, 0x630
	s_waitcnt lgkmcnt(0)
	v_pk_fma_f16 v30, v77, v28, v30
	s_nop 0
	v_pk_fma_f16 v30, v78, v29, v30
	s_nop 0
	v_cvt_f32_f16_e32 v80, v30
	v_cvt_f32_f16_sdwa v30, v30 dst_sel:DWORD dst_unused:UNUSED_PAD src0_sel:WORD_1
	v_add_f32_e32 v30, v30, v80
	v_fmac_f32_e32 v34, v30, v10
	v_pk_fma_f16 v30, v73, v26, 0
	s_nop 0
	v_pk_fma_f16 v30, v74, v27, v30
	s_nop 0
	;; [unrolled: 2-line block ×4, first 2 shown]
	v_cvt_f32_f16_e32 v80, v30
	v_cvt_f32_f16_sdwa v30, v30 dst_sel:DWORD dst_unused:UNUSED_PAD src0_sel:WORD_1
	v_add_f32_e32 v30, v30, v80
	v_fmac_f32_e32 v35, v30, v7
	v_pk_fma_f16 v30, v67, v26, 0
	v_pk_fma_f16 v26, v71, v26, 0
	;; [unrolled: 1-line block ×8, first 2 shown]
	v_cvt_f32_f16_e32 v80, v30
	v_cvt_f32_f16_e32 v27, v26
	v_cvt_f32_f16_sdwa v26, v26 dst_sel:DWORD dst_unused:UNUSED_PAD src0_sel:WORD_1
	v_cvt_f32_f16_sdwa v30, v30 dst_sel:DWORD dst_unused:UNUSED_PAD src0_sel:WORD_1
	v_add_f32_e32 v26, v26, v27
	v_fmac_f32_e32 v36, v26, v13
	v_mov_b32_e32 v26, s9
	v_add_f32_e32 v30, v30, v80
	ds_read2_b32 v[80:81], v26 offset1:1
	s_add_i32 s9, s6, 0x638
	v_mov_b32_e32 v27, s9
	v_fmac_f32_e32 v17, v30, v12
	s_add_i32 s6, s6, 64
	s_waitcnt lgkmcnt(0)
	v_pk_fma_f16 v26, v79, v80, 0
	s_cmp_ge_i32 s25, s26
	v_pk_fma_f16 v26, v31, v81, v26
	ds_read2_b32 v[30:31], v27 offset1:1
	s_waitcnt lgkmcnt(0)
	v_pk_fma_f16 v26, v77, v30, v26
	s_nop 0
	v_pk_fma_f16 v26, v78, v31, v26
	s_nop 0
	v_cvt_f32_f16_e32 v27, v26
	v_cvt_f32_f16_sdwa v26, v26 dst_sel:DWORD dst_unused:UNUSED_PAD src0_sel:WORD_1
	v_add_f32_e32 v26, v26, v27
	v_fmac_f32_e32 v32, v26, v10
	v_pk_fma_f16 v26, v73, v80, 0
	s_nop 0
	v_pk_fma_f16 v26, v74, v81, v26
	s_nop 0
	;; [unrolled: 2-line block ×4, first 2 shown]
	v_cvt_f32_f16_e32 v27, v26
	v_cvt_f32_f16_sdwa v26, v26 dst_sel:DWORD dst_unused:UNUSED_PAD src0_sel:WORD_1
	v_add_f32_e32 v26, v26, v27
	v_fmac_f32_e32 v33, v26, v7
	v_pk_fma_f16 v26, v67, v80, 0
	s_nop 0
	v_pk_fma_f16 v26, v68, v81, v26
	s_nop 0
	;; [unrolled: 2-line block ×4, first 2 shown]
	v_cvt_f32_f16_e32 v26, v27
	v_cvt_f32_f16_sdwa v28, v27 dst_sel:DWORD dst_unused:UNUSED_PAD src0_sel:WORD_1
	v_pk_fma_f16 v27, v71, v80, 0
	s_nop 0
	v_pk_fma_f16 v27, v72, v81, v27
	s_nop 0
	;; [unrolled: 2-line block ×4, first 2 shown]
	v_cvt_f32_f16_sdwa v29, v27 dst_sel:DWORD dst_unused:UNUSED_PAD src0_sel:WORD_1
	v_cvt_f32_f16_e32 v27, v27
	v_pk_add_f32 v[2:3], v[26:27], v[28:29]
	s_nop 0
	v_pk_fma_f32 v[4:5], v[2:3], v[12:13], v[0:1]
	s_cbranch_scc1 .LBB41_22
.LBB41_20:                              ; =>This Inner Loop Header: Depth=1
	s_cmp_lg_u32 s25, s8
	s_cbranch_scc1 .LBB41_19
; %bb.21:                               ;   in Loop: Header=BB41_20 Depth=1
	s_add_i32 s5, s5, 1
	s_mul_i32 s9, s5, s16
	s_ashr_i32 s17, s9, 31
	s_lshr_b32 s17, s17, 29
	s_add_i32 s17, s9, s17
	s_ashr_i32 s17, s17, 3
	v_add_u32_e32 v0, s9, v6
	v_add_u32_e32 v2, s17, v51
	v_ashrrev_i32_e32 v1, 31, v0
	v_ashrrev_i32_e32 v3, 31, v2
	v_lshl_add_u64 v[0:1], v[0:1], 1, s[12:13]
	v_lshl_add_u64 v[2:3], v[2:3], 2, s[10:11]
	global_load_dwordx2 v[0:1], v[0:1], off
	s_add_i32 s8, s8, s4
	global_load_dword v2, v[2:3], off
	s_waitcnt vmcnt(1)
	v_cvt_f32_f16_e32 v10, v0
	v_cvt_f32_f16_sdwa v7, v0 dst_sel:DWORD dst_unused:UNUSED_PAD src0_sel:WORD_1
	s_waitcnt vmcnt(0)
	v_lshrrev_b32_e32 v0, v59, v2
	v_cvt_f32_f16_e32 v12, v1
	v_cvt_f32_f16_sdwa v13, v1 dst_sel:DWORD dst_unused:UNUSED_PAD src0_sel:WORD_1
	v_lshrrev_b32_e32 v1, 4, v0
	v_and_b32_e32 v2, 15, v0
	v_lshrrev_b32_e32 v3, 12, v0
	v_lshrrev_b32_e32 v0, 8, v0
	v_and_b32_e32 v1, 15, v1
	v_and_b32_e32 v3, 15, v3
	;; [unrolled: 1-line block ×3, first 2 shown]
	v_add_u32_e32 v2, v2, v60
	v_add_u32_e32 v1, v1, v60
	;; [unrolled: 1-line block ×4, first 2 shown]
	v_mad_u32_u24 v61, v2, s18, v58
	v_cvt_f32_ubyte0_e32 v2, v2
	v_cvt_f32_ubyte0_e32 v11, v1
	v_mad_u32_u24 v63, v1, s18, v58
	v_mad_u32_u24 v62, v0, s18, v58
	v_cvt_f32_ubyte0_e32 v1, v3
	v_cvt_f32_ubyte0_e32 v0, v0
	v_cvt_pk_f16_f32 v2, v2, v11
	v_cvt_pk_f16_f32 v0, v0, v1
	v_pk_add_f16 v1, v2, s7 op_sel_hi:[1,0] neg_lo:[1,0] neg_hi:[1,0]
	v_pk_add_f16 v0, v0, s7 op_sel_hi:[1,0] neg_lo:[1,0] neg_hi:[1,0]
	v_mad_u32_u24 v64, v3, s18, v58
	v_mul_u32_u24_sdwa v14, v1, s18 dst_sel:DWORD dst_unused:UNUSED_PAD src0_sel:WORD_0 src1_sel:DWORD
	v_mul_u32_u24_sdwa v11, v1, s18 dst_sel:DWORD dst_unused:UNUSED_PAD src0_sel:WORD_1 src1_sel:DWORD
	v_mul_u32_u24_sdwa v16, v0, s18 dst_sel:DWORD dst_unused:UNUSED_PAD src0_sel:WORD_0 src1_sel:DWORD
	v_mul_u32_u24_sdwa v15, v0, s18 dst_sel:DWORD dst_unused:UNUSED_PAD src0_sel:WORD_1 src1_sel:DWORD
	s_branch .LBB41_19
.LBB41_22:
	s_mul_i32 s24, s24, s16
	v_add_u32_e32 v0, s24, v6
	v_ashrrev_i32_e32 v1, 31, v0
	v_lshl_add_u64 v[2:3], v[0:1], 1, s[14:15]
	global_load_dword v7, v[2:3], off
	v_cvt_pk_f16_f32 v1, v56, v57
	s_mov_b64 s[0:1], 0
.LBB41_23:                              ; =>This Inner Loop Header: Depth=1
	s_waitcnt vmcnt(0)
	v_pk_add_f16 v6, v1, v7
	global_atomic_cmpswap v6, v[2:3], v[6:7], off sc0
	s_waitcnt vmcnt(0)
	v_cmp_eq_u32_e32 vcc, v7, v6
	s_or_b64 s[0:1], vcc, s[0:1]
	v_mov_b32_e32 v7, v6
	s_andn2_b64 exec, exec, s[0:1]
	s_cbranch_execnz .LBB41_23
; %bb.24:
	s_or_b64 exec, exec, s[0:1]
	global_load_dword v7, v[2:3], off offset:4
	v_cvt_pk_f16_f32 v1, v54, v55
	s_mov_b64 s[0:1], 0
.LBB41_25:                              ; =>This Inner Loop Header: Depth=1
	s_waitcnt vmcnt(0)
	v_pk_add_f16 v6, v1, v7
	global_atomic_cmpswap v6, v[2:3], v[6:7], off offset:4 sc0
	s_waitcnt vmcnt(0)
	v_cmp_eq_u32_e32 vcc, v7, v6
	s_or_b64 s[0:1], vcc, s[0:1]
	v_mov_b32_e32 v7, v6
	s_andn2_b64 exec, exec, s[0:1]
	s_cbranch_execnz .LBB41_25
; %bb.26:
	s_or_b64 exec, exec, s[0:1]
	v_add_u32_e32 v0, s16, v0
	v_ashrrev_i32_e32 v1, 31, v0
	v_lshl_add_u64 v[2:3], v[0:1], 1, s[14:15]
	global_load_dword v7, v[2:3], off
	v_cvt_pk_f16_f32 v1, v52, v53
	s_mov_b64 s[0:1], 0
.LBB41_27:                              ; =>This Inner Loop Header: Depth=1
	s_waitcnt vmcnt(0)
	v_pk_add_f16 v6, v1, v7
	global_atomic_cmpswap v6, v[2:3], v[6:7], off sc0
	s_waitcnt vmcnt(0)
	v_cmp_eq_u32_e32 vcc, v7, v6
	s_or_b64 s[0:1], vcc, s[0:1]
	v_mov_b32_e32 v7, v6
	s_andn2_b64 exec, exec, s[0:1]
	s_cbranch_execnz .LBB41_27
; %bb.28:
	s_or_b64 exec, exec, s[0:1]
	global_load_dword v7, v[2:3], off offset:4
	v_cvt_pk_f16_f32 v1, v49, v50
	s_mov_b64 s[0:1], 0
.LBB41_29:                              ; =>This Inner Loop Header: Depth=1
	s_waitcnt vmcnt(0)
	v_pk_add_f16 v6, v1, v7
	global_atomic_cmpswap v6, v[2:3], v[6:7], off offset:4 sc0
	s_waitcnt vmcnt(0)
	v_cmp_eq_u32_e32 vcc, v7, v6
	s_or_b64 s[0:1], vcc, s[0:1]
	v_mov_b32_e32 v7, v6
	s_andn2_b64 exec, exec, s[0:1]
	s_cbranch_execnz .LBB41_29
; %bb.30:
	s_or_b64 exec, exec, s[0:1]
	;; [unrolled: 33-line block ×6, first 2 shown]
	v_add_u32_e32 v0, s16, v0
	v_ashrrev_i32_e32 v1, 31, v0
	v_lshl_add_u64 v[0:1], v[0:1], 1, s[14:15]
	global_load_dword v3, v[0:1], off
	v_cvt_pk_f16_f32 v6, v32, v33
	s_mov_b64 s[0:1], 0
.LBB41_47:                              ; =>This Inner Loop Header: Depth=1
	s_waitcnt vmcnt(0)
	v_pk_add_f16 v2, v6, v3
	global_atomic_cmpswap v2, v[0:1], v[2:3], off sc0
	s_waitcnt vmcnt(0)
	v_cmp_eq_u32_e32 vcc, v3, v2
	s_or_b64 s[0:1], vcc, s[0:1]
	v_mov_b32_e32 v3, v2
	s_andn2_b64 exec, exec, s[0:1]
	s_cbranch_execnz .LBB41_47
; %bb.48:
	s_or_b64 exec, exec, s[0:1]
	global_load_dword v3, v[0:1], off offset:4
	v_cvt_pk_f16_f32 v4, v4, v5
	s_mov_b64 s[0:1], 0
.LBB41_49:                              ; =>This Inner Loop Header: Depth=1
	s_waitcnt vmcnt(0)
	v_pk_add_f16 v2, v4, v3
	global_atomic_cmpswap v2, v[0:1], v[2:3], off offset:4 sc0
	s_waitcnt vmcnt(0)
	v_cmp_eq_u32_e32 vcc, v3, v2
	s_or_b64 s[0:1], vcc, s[0:1]
	v_mov_b32_e32 v3, v2
	s_andn2_b64 exec, exec, s[0:1]
	s_cbranch_execnz .LBB41_49
.LBB41_50:
	s_endpgm
	.section	.rodata,"a",@progbits
	.p2align	6, 0x0
	.amdhsa_kernel _ZN4vllm4gptq33gemm_half_q_half_gptq_4bit_kernelILb1ELi7EEEvPK6__halfPKjS6_S4_PS2_iiiibPKi
		.amdhsa_group_segment_fixed_size 1792
		.amdhsa_private_segment_fixed_size 0
		.amdhsa_kernarg_size 72
		.amdhsa_user_sgpr_count 2
		.amdhsa_user_sgpr_dispatch_ptr 0
		.amdhsa_user_sgpr_queue_ptr 0
		.amdhsa_user_sgpr_kernarg_segment_ptr 1
		.amdhsa_user_sgpr_dispatch_id 0
		.amdhsa_user_sgpr_kernarg_preload_length 0
		.amdhsa_user_sgpr_kernarg_preload_offset 0
		.amdhsa_user_sgpr_private_segment_size 0
		.amdhsa_uses_dynamic_stack 0
		.amdhsa_enable_private_segment 0
		.amdhsa_system_sgpr_workgroup_id_x 1
		.amdhsa_system_sgpr_workgroup_id_y 1
		.amdhsa_system_sgpr_workgroup_id_z 1
		.amdhsa_system_sgpr_workgroup_info 0
		.amdhsa_system_vgpr_workitem_id 0
		.amdhsa_next_free_vgpr 82
		.amdhsa_next_free_sgpr 27
		.amdhsa_accum_offset 84
		.amdhsa_reserve_vcc 1
		.amdhsa_float_round_mode_32 0
		.amdhsa_float_round_mode_16_64 0
		.amdhsa_float_denorm_mode_32 3
		.amdhsa_float_denorm_mode_16_64 3
		.amdhsa_dx10_clamp 1
		.amdhsa_ieee_mode 1
		.amdhsa_fp16_overflow 0
		.amdhsa_tg_split 0
		.amdhsa_exception_fp_ieee_invalid_op 0
		.amdhsa_exception_fp_denorm_src 0
		.amdhsa_exception_fp_ieee_div_zero 0
		.amdhsa_exception_fp_ieee_overflow 0
		.amdhsa_exception_fp_ieee_underflow 0
		.amdhsa_exception_fp_ieee_inexact 0
		.amdhsa_exception_int_div_zero 0
	.end_amdhsa_kernel
	.section	.text._ZN4vllm4gptq33gemm_half_q_half_gptq_4bit_kernelILb1ELi7EEEvPK6__halfPKjS6_S4_PS2_iiiibPKi,"axG",@progbits,_ZN4vllm4gptq33gemm_half_q_half_gptq_4bit_kernelILb1ELi7EEEvPK6__halfPKjS6_S4_PS2_iiiibPKi,comdat
.Lfunc_end41:
	.size	_ZN4vllm4gptq33gemm_half_q_half_gptq_4bit_kernelILb1ELi7EEEvPK6__halfPKjS6_S4_PS2_iiiibPKi, .Lfunc_end41-_ZN4vllm4gptq33gemm_half_q_half_gptq_4bit_kernelILb1ELi7EEEvPK6__halfPKjS6_S4_PS2_iiiibPKi
                                        ; -- End function
	.set _ZN4vllm4gptq33gemm_half_q_half_gptq_4bit_kernelILb1ELi7EEEvPK6__halfPKjS6_S4_PS2_iiiibPKi.num_vgpr, 82
	.set _ZN4vllm4gptq33gemm_half_q_half_gptq_4bit_kernelILb1ELi7EEEvPK6__halfPKjS6_S4_PS2_iiiibPKi.num_agpr, 0
	.set _ZN4vllm4gptq33gemm_half_q_half_gptq_4bit_kernelILb1ELi7EEEvPK6__halfPKjS6_S4_PS2_iiiibPKi.numbered_sgpr, 27
	.set _ZN4vllm4gptq33gemm_half_q_half_gptq_4bit_kernelILb1ELi7EEEvPK6__halfPKjS6_S4_PS2_iiiibPKi.num_named_barrier, 0
	.set _ZN4vllm4gptq33gemm_half_q_half_gptq_4bit_kernelILb1ELi7EEEvPK6__halfPKjS6_S4_PS2_iiiibPKi.private_seg_size, 0
	.set _ZN4vllm4gptq33gemm_half_q_half_gptq_4bit_kernelILb1ELi7EEEvPK6__halfPKjS6_S4_PS2_iiiibPKi.uses_vcc, 1
	.set _ZN4vllm4gptq33gemm_half_q_half_gptq_4bit_kernelILb1ELi7EEEvPK6__halfPKjS6_S4_PS2_iiiibPKi.uses_flat_scratch, 0
	.set _ZN4vllm4gptq33gemm_half_q_half_gptq_4bit_kernelILb1ELi7EEEvPK6__halfPKjS6_S4_PS2_iiiibPKi.has_dyn_sized_stack, 0
	.set _ZN4vllm4gptq33gemm_half_q_half_gptq_4bit_kernelILb1ELi7EEEvPK6__halfPKjS6_S4_PS2_iiiibPKi.has_recursion, 0
	.set _ZN4vllm4gptq33gemm_half_q_half_gptq_4bit_kernelILb1ELi7EEEvPK6__halfPKjS6_S4_PS2_iiiibPKi.has_indirect_call, 0
	.section	.AMDGPU.csdata,"",@progbits
; Kernel info:
; codeLenInByte = 12348
; TotalNumSgprs: 33
; NumVgprs: 82
; NumAgprs: 0
; TotalNumVgprs: 82
; ScratchSize: 0
; MemoryBound: 0
; FloatMode: 240
; IeeeMode: 1
; LDSByteSize: 1792 bytes/workgroup (compile time only)
; SGPRBlocks: 4
; VGPRBlocks: 10
; NumSGPRsForWavesPerEU: 33
; NumVGPRsForWavesPerEU: 82
; AccumOffset: 84
; Occupancy: 5
; WaveLimiterHint : 0
; COMPUTE_PGM_RSRC2:SCRATCH_EN: 0
; COMPUTE_PGM_RSRC2:USER_SGPR: 2
; COMPUTE_PGM_RSRC2:TRAP_HANDLER: 0
; COMPUTE_PGM_RSRC2:TGID_X_EN: 1
; COMPUTE_PGM_RSRC2:TGID_Y_EN: 1
; COMPUTE_PGM_RSRC2:TGID_Z_EN: 1
; COMPUTE_PGM_RSRC2:TIDIG_COMP_CNT: 0
; COMPUTE_PGM_RSRC3_GFX90A:ACCUM_OFFSET: 20
; COMPUTE_PGM_RSRC3_GFX90A:TG_SPLIT: 0
	.section	.text._ZN4vllm4gptq33gemm_half_q_half_gptq_8bit_kernelILb1ELi7EEEvPK6__halfPKjS6_S4_PS2_iiiibPKi,"axG",@progbits,_ZN4vllm4gptq33gemm_half_q_half_gptq_8bit_kernelILb1ELi7EEEvPK6__halfPKjS6_S4_PS2_iiiibPKi,comdat
	.protected	_ZN4vllm4gptq33gemm_half_q_half_gptq_8bit_kernelILb1ELi7EEEvPK6__halfPKjS6_S4_PS2_iiiibPKi ; -- Begin function _ZN4vllm4gptq33gemm_half_q_half_gptq_8bit_kernelILb1ELi7EEEvPK6__halfPKjS6_S4_PS2_iiiibPKi
	.globl	_ZN4vllm4gptq33gemm_half_q_half_gptq_8bit_kernelILb1ELi7EEEvPK6__halfPKjS6_S4_PS2_iiiibPKi
	.p2align	8
	.type	_ZN4vllm4gptq33gemm_half_q_half_gptq_8bit_kernelILb1ELi7EEEvPK6__halfPKjS6_S4_PS2_iiiibPKi,@function
_ZN4vllm4gptq33gemm_half_q_half_gptq_8bit_kernelILb1ELi7EEEvPK6__halfPKjS6_S4_PS2_iiiibPKi: ; @_ZN4vllm4gptq33gemm_half_q_half_gptq_8bit_kernelILb1ELi7EEEvPK6__halfPKjS6_S4_PS2_iiiibPKi
; %bb.0:
	s_load_dwordx8 s[8:15], s[0:1], 0x8
	s_load_dwordx4 s[16:19], s[0:1], 0x2c
	s_lshl_b32 s24, s4, 7
	s_add_i32 s4, s24, 0x80
	v_cvt_f64_u32_e32 v[2:3], s4
	s_mul_i32 s3, s3, 7
	s_waitcnt lgkmcnt(0)
	v_cvt_f64_i32_e32 v[4:5], s17
	v_min_f64 v[2:3], v[2:3], v[4:5]
	v_cvt_i32_f64_e32 v1, v[2:3]
	v_add_u32_e32 v2, s24, v0
	v_readfirstlane_b32 s25, v1
	v_cmp_lt_u32_e32 vcc, v2, v1
	s_and_saveexec_b64 s[4:5], vcc
	s_cbranch_execz .LBB42_16
; %bb.1:
	s_load_dwordx2 s[22:23], s[0:1], 0x40
	s_load_dwordx2 s[6:7], s[0:1], 0x0
	v_mov_b32_e32 v3, 0
	v_mov_b64_e32 v[6:7], v[2:3]
	s_waitcnt lgkmcnt(0)
	s_cmp_lg_u64 s[22:23], 0
	s_cselect_b64 s[20:21], -1, 0
	s_cmp_eq_u64 s[22:23], 0
	v_lshl_add_u64 v[4:5], v[2:3], 2, s[22:23]
	s_cbranch_scc1 .LBB42_3
; %bb.2:
	global_load_dword v6, v[4:5], off
	s_waitcnt vmcnt(0)
	v_ashrrev_i32_e32 v7, 31, v6
.LBB42_3:
	s_mul_i32 s22, s3, s17
	s_ashr_i32 s23, s22, 31
	s_lshl_b64 s[0:1], s[22:23], 1
	s_add_u32 s0, s6, s0
	s_addc_u32 s1, s7, s1
	v_lshl_add_u64 v[6:7], v[6:7], 1, s[0:1]
	global_load_ushort v6, v[6:7], off
	v_lshlrev_b32_e32 v1, 1, v0
	v_cndmask_b32_e64 v7, 0, 1, s[20:21]
	v_cmp_ne_u32_e64 s[0:1], 1, v7
	s_andn2_b64 vcc, exec, s[20:21]
	s_waitcnt vmcnt(0)
	ds_write_b16 v1, v6
	v_mov_b64_e32 v[6:7], v[2:3]
	s_cbranch_vccnz .LBB42_5
; %bb.4:
	global_load_dword v6, v[4:5], off
	s_waitcnt vmcnt(0)
	v_ashrrev_i32_e32 v7, 31, v6
.LBB42_5:
	s_add_i32 s20, s22, s17
	s_ashr_i32 s21, s20, 31
	s_lshl_b64 s[22:23], s[20:21], 1
	s_add_u32 s22, s6, s22
	s_addc_u32 s23, s7, s23
	v_lshl_add_u64 v[6:7], v[6:7], 1, s[22:23]
	global_load_ushort v6, v[6:7], off
	s_and_b64 vcc, exec, s[0:1]
	s_waitcnt vmcnt(0)
	ds_write_b16 v1, v6 offset:256
	v_mov_b64_e32 v[6:7], v[2:3]
	s_cbranch_vccnz .LBB42_7
; %bb.6:
	global_load_dword v6, v[4:5], off
	s_waitcnt vmcnt(0)
	v_ashrrev_i32_e32 v7, 31, v6
.LBB42_7:
	s_add_i32 s20, s20, s17
	s_ashr_i32 s21, s20, 31
	s_lshl_b64 s[22:23], s[20:21], 1
	s_add_u32 s22, s6, s22
	s_addc_u32 s23, s7, s23
	v_lshl_add_u64 v[6:7], v[6:7], 1, s[22:23]
	global_load_ushort v6, v[6:7], off
	s_and_b64 vcc, exec, s[0:1]
	s_waitcnt vmcnt(0)
	ds_write_b16 v1, v6 offset:512
	;; [unrolled: 17-line block ×5, first 2 shown]
	s_cbranch_vccnz .LBB42_15
; %bb.14:
	global_load_dword v2, v[4:5], off
	s_waitcnt vmcnt(0)
	v_ashrrev_i32_e32 v3, 31, v2
.LBB42_15:
	s_add_i32 s0, s20, s17
	s_ashr_i32 s1, s0, 31
	s_lshl_b64 s[0:1], s[0:1], 1
	s_add_u32 s0, s6, s0
	s_addc_u32 s1, s7, s1
	v_lshl_add_u64 v[2:3], v[2:3], 1, s[0:1]
	global_load_ushort v2, v[2:3], off
	s_waitcnt vmcnt(0)
	ds_write_b16 v1, v2 offset:1536
.LBB42_16:
	s_or_b64 exec, exec, s[4:5]
	v_lshlrev_b32_e32 v0, 2, v0
	v_lshl_add_u32 v16, s2, 9, v0
	v_cmp_gt_i32_e32 vcc, s16, v16
	s_and_saveexec_b64 s[0:1], vcc
	s_cbranch_execz .LBB42_50
; %bb.17:
	s_abs_i32 s0, s18
	v_cvt_f32_u32_e32 v0, s0
	s_mov_b32 s2, 0
	v_mov_b32_e32 v15, 0
	v_mov_b32_e32 v14, 0
	v_rcp_iflag_f32_e32 v0, v0
	v_mov_b32_e32 v55, 0
	v_mov_b32_e32 v54, 0
	s_cmp_ge_i32 s24, s25
	v_mul_f32_e32 v0, 0x4f7ffffe, v0
	v_cvt_u32_f32_e32 v0, v0
	v_mov_b32_e32 v57, 0
	v_mov_b32_e32 v56, 0
	;; [unrolled: 1-line block ×3, first 2 shown]
	v_readfirstlane_b32 s1, v0
	v_mov_b32_e32 v58, 0
	v_mov_b32_e32 v61, 0
	;; [unrolled: 1-line block ×7, first 2 shown]
	s_waitcnt lgkmcnt(0)
	s_barrier
	s_cbranch_scc1 .LBB42_22
; %bb.18:
	s_sub_i32 s7, 0, s0
	s_mul_i32 s7, s7, s1
	s_mul_hi_u32 s7, s1, s7
	s_abs_i32 s6, s17
	s_add_i32 s1, s1, s7
	s_ashr_i32 s4, s17, 31
	s_ashr_i32 s5, s18, 31
	s_mul_hi_u32 s1, s6, s1
	s_xor_b32 s4, s4, s5
	s_mul_i32 s5, s1, s0
	s_sub_i32 s5, s6, s5
	s_add_i32 s6, s1, 1
	s_sub_i32 s7, s5, s0
	s_cmp_ge_u32 s5, s0
	s_cselect_b32 s1, s6, s1
	s_cselect_b32 s5, s7, s5
	s_add_i32 s6, s1, 1
	s_cmp_ge_u32 s5, s0
	s_cselect_b32 s0, s6, s1
	s_xor_b32 s0, s0, s4
	s_sub_i32 s4, s0, s4
	v_cvt_f32_u32_e32 v0, s4
	s_bitcmp1_b32 s19, 0
	s_cselect_b64 s[0:1], -1, 0
	s_sub_i32 s5, 0, s4
	v_rcp_iflag_f32_e32 v0, v0
	s_xor_b64 s[0:1], s[0:1], -1
	v_ashrrev_i32_e32 v22, 2, v16
	v_cndmask_b32_e64 v23, 0, 1, s[0:1]
	v_mul_f32_e32 v0, 0x4f7ffffe, v0
	v_cvt_u32_f32_e32 v0, v0
	v_ashrrev_i32_e32 v17, 31, v16
	v_mov_b32_e32 v32, 0
	v_mov_b32_e32 v20, 0
	v_readfirstlane_b32 s6, v0
	s_mul_i32 s5, s5, s6
	s_mul_hi_u32 s5, s6, s5
	s_add_i32 s6, s6, s5
	s_mul_hi_u32 s5, s24, s6
	s_mul_i32 s6, s5, s4
	s_sub_i32 s6, s24, s6
	s_add_i32 s7, s5, 1
	s_sub_i32 s17, s6, s4
	s_cmp_ge_u32 s6, s4
	s_cselect_b32 s5, s7, s5
	s_cselect_b32 s6, s17, s6
	s_add_i32 s7, s5, 1
	s_cmp_ge_u32 s6, s4
	s_cselect_b32 s5, s7, s5
	s_mul_i32 s6, s5, s16
	s_ashr_i32 s7, s6, 31
	s_lshr_b32 s7, s7, 30
	s_add_i32 s7, s6, s7
	s_ashr_i32 s7, s7, 2
	v_add_u32_e32 v0, s7, v22
	v_ashrrev_i32_e32 v1, 31, v0
	v_lshl_add_u64 v[0:1], v[0:1], 2, s[10:11]
	global_load_dword v2, v[0:1], off
	v_add_u32_e32 v0, s6, v16
	v_ashrrev_i32_e32 v1, 31, v0
	v_lshl_add_u64 v[0:1], v[0:1], 1, s[12:13]
	global_load_dwordx2 v[18:19], v[0:1], off
	s_lshr_b32 s0, s24, 2
	s_mul_i32 s0, s16, s0
	s_ashr_i32 s1, s0, 31
	s_lshl_b64 s[0:1], s[0:1], 2
	s_add_u32 s0, s8, s0
	s_addc_u32 s1, s9, s1
	s_ashr_i32 s17, s16, 31
	v_mov_b32_e32 v62, 0
	v_mov_b32_e32 v63, 0
	v_mov_b32_e32 v60, 0
	v_mov_b32_e32 v61, 0
	v_mov_b32_e32 v58, 0
	v_mov_b32_e32 v59, 0
	v_mov_b32_e32 v56, 0
	v_mov_b32_e32 v57, 0
	v_mov_b32_e32 v54, 0
	v_mov_b32_e32 v55, 0
	v_mov_b32_e32 v14, 0
	s_add_i32 s6, s4, s24
	v_lshl_add_u64 v[0:1], v[16:17], 2, s[0:1]
	s_lshl_b64 s[0:1], s[16:17], 2
	v_mov_b32_e32 v15, 0
	s_waitcnt vmcnt(1)
	v_and_b32_e32 v17, 0xff, v2
	v_bfe_u32 v24, v2, 8, 8
	v_bfe_u32 v25, v2, 16, 8
	v_lshrrev_b32_e32 v26, 24, v2
	s_branch .LBB42_20
.LBB42_19:                              ;   in Loop: Header=BB42_20 Depth=1
	global_load_dwordx4 v[4:7], v[0:1], off
	v_lshl_add_u64 v[12:13], v[0:1], 0, s[0:1]
	global_load_dwordx4 v[0:3], v[12:13], off
	v_add_u32_e32 v31, v17, v23
	v_add_u32_e32 v30, v24, v23
	;; [unrolled: 1-line block ×4, first 2 shown]
	v_mov_b32_e32 v27, s2
	v_lshl_add_u64 v[12:13], v[12:13], 0, s[0:1]
	s_add_i32 s2, s2, 64
	s_add_i32 s24, s24, 32
	s_cmp_ge_i32 s24, s25
	s_waitcnt vmcnt(1)
	v_sub_u32_sdwa v8, v4, v31 dst_sel:DWORD dst_unused:UNUSED_PAD src0_sel:BYTE_0 src1_sel:DWORD
	v_cvt_f32_i32_e32 v8, v8
	v_cvt_f16_f32_e32 v21, v8
	v_sub_u32_sdwa v8, v4, v31 dst_sel:DWORD dst_unused:UNUSED_PAD src0_sel:BYTE_1 src1_sel:DWORD
	v_cvt_f32_i32_e32 v8, v8
	v_cvt_f16_f32_e32 v33, v8
	v_sub_u32_sdwa v8, v4, v31 dst_sel:DWORD dst_unused:UNUSED_PAD src0_sel:BYTE_2 src1_sel:DWORD
	v_sub_u32_sdwa v4, v4, v31 dst_sel:DWORD dst_unused:UNUSED_PAD src0_sel:BYTE_3 src1_sel:DWORD
	v_cvt_f32_i32_e32 v4, v4
	v_cvt_f32_i32_e32 v8, v8
	v_cvt_f16_f32_e32 v35, v4
	s_waitcnt vmcnt(0)
	v_sub_u32_sdwa v4, v0, v31 dst_sel:DWORD dst_unused:UNUSED_PAD src0_sel:BYTE_0 src1_sel:DWORD
	v_cvt_f32_i32_e32 v4, v4
	v_cvt_f16_f32_e32 v34, v8
	v_cvt_f16_f32_e32 v36, v4
	v_sub_u32_sdwa v4, v0, v31 dst_sel:DWORD dst_unused:UNUSED_PAD src0_sel:BYTE_1 src1_sel:DWORD
	v_cvt_f32_i32_e32 v4, v4
	v_cvt_f16_f32_e32 v37, v4
	v_sub_u32_sdwa v4, v0, v31 dst_sel:DWORD dst_unused:UNUSED_PAD src0_sel:BYTE_2 src1_sel:DWORD
	v_sub_u32_sdwa v0, v0, v31 dst_sel:DWORD dst_unused:UNUSED_PAD src0_sel:BYTE_3 src1_sel:DWORD
	v_cvt_f32_i32_e32 v0, v0
	v_cvt_f32_i32_e32 v4, v4
	v_cvt_f16_f32_e32 v39, v0
	v_sub_u32_sdwa v0, v5, v30 dst_sel:DWORD dst_unused:UNUSED_PAD src0_sel:BYTE_0 src1_sel:DWORD
	v_cvt_f32_i32_e32 v0, v0
	v_cvt_f16_f32_e32 v38, v4
	v_cvt_f16_f32_e32 v40, v0
	v_sub_u32_sdwa v0, v5, v30 dst_sel:DWORD dst_unused:UNUSED_PAD src0_sel:BYTE_1 src1_sel:DWORD
	v_cvt_f32_i32_e32 v0, v0
	v_cvt_f16_f32_e32 v41, v0
	v_sub_u32_sdwa v0, v5, v30 dst_sel:DWORD dst_unused:UNUSED_PAD src0_sel:BYTE_2 src1_sel:DWORD
	v_cvt_f32_i32_e32 v0, v0
	v_cvt_f16_f32_e32 v42, v0
	v_sub_u32_sdwa v0, v5, v30 dst_sel:DWORD dst_unused:UNUSED_PAD src0_sel:BYTE_3 src1_sel:DWORD
	v_cvt_f32_i32_e32 v0, v0
	v_cvt_f16_f32_e32 v43, v0
	v_sub_u32_sdwa v0, v1, v30 dst_sel:DWORD dst_unused:UNUSED_PAD src0_sel:BYTE_0 src1_sel:DWORD
	v_cvt_f32_i32_e32 v0, v0
	v_cvt_f16_f32_e32 v44, v0
	v_sub_u32_sdwa v0, v1, v30 dst_sel:DWORD dst_unused:UNUSED_PAD src0_sel:BYTE_1 src1_sel:DWORD
	v_cvt_f32_i32_e32 v0, v0
	v_cvt_f16_f32_e32 v45, v0
	v_sub_u32_sdwa v0, v1, v30 dst_sel:DWORD dst_unused:UNUSED_PAD src0_sel:BYTE_2 src1_sel:DWORD
	v_cvt_f32_i32_e32 v0, v0
	v_cvt_f16_f32_e32 v46, v0
	v_sub_u32_sdwa v0, v1, v30 dst_sel:DWORD dst_unused:UNUSED_PAD src0_sel:BYTE_3 src1_sel:DWORD
	v_cvt_f32_i32_e32 v0, v0
	v_cvt_f16_f32_e32 v47, v0
	v_sub_u32_sdwa v0, v6, v29 dst_sel:DWORD dst_unused:UNUSED_PAD src0_sel:BYTE_0 src1_sel:DWORD
	v_cvt_f32_i32_e32 v0, v0
	;; [unrolled: 12-line block ×5, first 2 shown]
	v_cvt_f16_f32_e32 v91, v0
	v_sub_u32_sdwa v0, v3, v28 dst_sel:DWORD dst_unused:UNUSED_PAD src0_sel:BYTE_1 src1_sel:DWORD
	v_cvt_f32_i32_e32 v0, v0
	v_cvt_f16_f32_e32 v93, v0
	v_sub_u32_sdwa v0, v3, v28 dst_sel:DWORD dst_unused:UNUSED_PAD src0_sel:BYTE_2 src1_sel:DWORD
	v_cvt_f32_i32_e32 v0, v0
	v_cvt_f16_f32_e32 v95, v0
	v_sub_u32_sdwa v0, v3, v28 dst_sel:DWORD dst_unused:UNUSED_PAD src0_sel:BYTE_3 src1_sel:DWORD
	v_cvt_f32_i32_e32 v0, v0
	v_cvt_f16_f32_e32 v97, v0
	ds_read_b128 v[68:71], v27
	ds_read_b128 v[8:11], v27 offset:16
	ds_read_b128 v[4:7], v27 offset:32
	;; [unrolled: 1-line block ×4, first 2 shown]
	s_waitcnt lgkmcnt(4)
	v_fma_mix_f32 v72, v21, v68, 0 op_sel_hi:[1,1,0]
	s_nop 0
	v_fma_mix_f32 v72, v33, v68, v72 op_sel:[0,1,0] op_sel_hi:[1,1,0]
	s_nop 0
	v_fma_mix_f32 v72, v34, v69, v72 op_sel_hi:[1,1,0]
	s_nop 0
	v_fma_mix_f32 v72, v35, v69, v72 op_sel:[0,1,0] op_sel_hi:[1,1,0]
	s_nop 0
	;; [unrolled: 4-line block ×4, first 2 shown]
	v_fma_mixlo_f16 v72, v72, v18, 0 op_sel_hi:[0,1,0]
	v_add_f16_e32 v90, v15, v72
	v_fma_mix_f32 v72, v40, v68, 0 op_sel_hi:[1,1,0]
	s_nop 0
	v_fma_mix_f32 v72, v41, v68, v72 op_sel:[0,1,0] op_sel_hi:[1,1,0]
	s_nop 0
	v_fma_mix_f32 v72, v42, v69, v72 op_sel_hi:[1,1,0]
	s_nop 0
	v_fma_mix_f32 v72, v43, v69, v72 op_sel:[0,1,0] op_sel_hi:[1,1,0]
	s_nop 0
	v_fma_mix_f32 v72, v44, v70, v72 op_sel_hi:[1,1,0]
	s_nop 0
	v_fma_mix_f32 v72, v45, v70, v72 op_sel:[0,1,0] op_sel_hi:[1,1,0]
	s_nop 0
	v_fma_mix_f32 v72, v46, v71, v72 op_sel_hi:[1,1,0]
	s_nop 0
	v_fma_mix_f32 v72, v47, v71, v72 op_sel:[0,1,0] op_sel_hi:[1,1,0]
	s_nop 0
	v_fma_mixlo_f16 v72, v72, v18, 0 op_sel:[0,1,0] op_sel_hi:[0,1,0]
	v_add_f16_sdwa v92, v15, v72 dst_sel:DWORD dst_unused:UNUSED_PAD src0_sel:WORD_1 src1_sel:DWORD
	v_fma_mix_f32 v15, v48, v68, 0 op_sel_hi:[1,1,0]
	ds_read_b128 v[72:75], v27 offset:256
	v_fma_mix_f32 v15, v49, v68, v15 op_sel:[0,1,0] op_sel_hi:[1,1,0]
	s_nop 0
	v_fma_mix_f32 v15, v50, v69, v15 op_sel_hi:[1,1,0]
	s_nop 0
	v_fma_mix_f32 v15, v51, v69, v15 op_sel:[0,1,0] op_sel_hi:[1,1,0]
	s_nop 0
	v_fma_mix_f32 v15, v52, v70, v15 op_sel_hi:[1,1,0]
	s_nop 0
	;; [unrolled: 4-line block ×3, first 2 shown]
	v_fma_mix_f32 v15, v65, v71, v15 op_sel:[0,1,0] op_sel_hi:[1,1,0]
	s_nop 0
	v_fma_mixlo_f16 v15, v15, v19, 0 op_sel_hi:[0,1,0]
	v_add_f16_e32 v94, v14, v15
	v_fma_mix_f32 v15, v66, v68, 0 op_sel_hi:[1,1,0]
	s_nop 0
	v_fma_mix_f32 v15, v67, v68, v15 op_sel:[0,1,0] op_sel_hi:[1,1,0]
	s_nop 0
	v_fma_mix_f32 v15, v88, v69, v15 op_sel_hi:[1,1,0]
	s_nop 0
	v_fma_mix_f32 v15, v89, v69, v15 op_sel:[0,1,0] op_sel_hi:[1,1,0]
	s_nop 0
	;; [unrolled: 4-line block ×4, first 2 shown]
	v_fma_mixlo_f16 v15, v15, v19, 0 op_sel:[0,1,0] op_sel_hi:[0,1,0]
	v_add_f16_sdwa v96, v14, v15 dst_sel:DWORD dst_unused:UNUSED_PAD src0_sel:WORD_1 src1_sel:DWORD
	s_waitcnt lgkmcnt(0)
	v_fma_mix_f32 v14, v21, v72, 0 op_sel_hi:[1,1,0]
	s_nop 0
	v_fma_mix_f32 v14, v33, v72, v14 op_sel:[0,1,0] op_sel_hi:[1,1,0]
	s_nop 0
	v_fma_mix_f32 v14, v34, v73, v14 op_sel_hi:[1,1,0]
	s_nop 0
	v_fma_mix_f32 v14, v35, v73, v14 op_sel:[0,1,0] op_sel_hi:[1,1,0]
	s_nop 0
	v_fma_mix_f32 v14, v36, v74, v14 op_sel_hi:[1,1,0]
	s_nop 0
	v_fma_mix_f32 v14, v37, v74, v14 op_sel:[0,1,0] op_sel_hi:[1,1,0]
	s_nop 0
	v_fma_mix_f32 v14, v38, v75, v14 op_sel_hi:[1,1,0]
	s_nop 0
	v_fma_mix_f32 v14, v39, v75, v14 op_sel:[0,1,0] op_sel_hi:[1,1,0]
	s_nop 0
	v_fma_mixlo_f16 v14, v14, v18, 0 op_sel_hi:[0,1,0]
	v_add_f16_e32 v68, v55, v14
	v_fma_mix_f32 v14, v40, v72, 0 op_sel_hi:[1,1,0]
	s_nop 0
	v_fma_mix_f32 v14, v41, v72, v14 op_sel:[0,1,0] op_sel_hi:[1,1,0]
	s_nop 0
	v_fma_mix_f32 v14, v42, v73, v14 op_sel_hi:[1,1,0]
	s_nop 0
	v_fma_mix_f32 v14, v43, v73, v14 op_sel:[0,1,0] op_sel_hi:[1,1,0]
	s_nop 0
	v_fma_mix_f32 v14, v44, v74, v14 op_sel_hi:[1,1,0]
	s_nop 0
	v_fma_mix_f32 v14, v45, v74, v14 op_sel:[0,1,0] op_sel_hi:[1,1,0]
	s_nop 0
	v_fma_mix_f32 v14, v46, v75, v14 op_sel_hi:[1,1,0]
	s_nop 0
	v_fma_mix_f32 v14, v47, v75, v14 op_sel:[0,1,0] op_sel_hi:[1,1,0]
	s_nop 0
	v_fma_mixlo_f16 v14, v14, v18, 0 op_sel:[0,1,0] op_sel_hi:[0,1,0]
	v_add_f16_sdwa v69, v55, v14 dst_sel:DWORD dst_unused:UNUSED_PAD src0_sel:WORD_1 src1_sel:DWORD
	v_fma_mix_f32 v14, v48, v72, 0 op_sel_hi:[1,1,0]
	s_nop 0
	v_fma_mix_f32 v14, v49, v72, v14 op_sel:[0,1,0] op_sel_hi:[1,1,0]
	s_nop 0
	v_fma_mix_f32 v14, v50, v73, v14 op_sel_hi:[1,1,0]
	s_nop 0
	v_fma_mix_f32 v14, v51, v73, v14 op_sel:[0,1,0] op_sel_hi:[1,1,0]
	s_nop 0
	v_fma_mix_f32 v14, v52, v74, v14 op_sel_hi:[1,1,0]
	s_nop 0
	v_fma_mix_f32 v14, v53, v74, v14 op_sel:[0,1,0] op_sel_hi:[1,1,0]
	s_nop 0
	v_fma_mix_f32 v14, v64, v75, v14 op_sel_hi:[1,1,0]
	s_nop 0
	v_fma_mix_f32 v14, v65, v75, v14 op_sel:[0,1,0] op_sel_hi:[1,1,0]
	s_nop 0
	v_fma_mixlo_f16 v14, v14, v19, 0 op_sel_hi:[0,1,0]
	v_add_f16_e32 v70, v54, v14
	v_fma_mix_f32 v14, v66, v72, 0 op_sel_hi:[1,1,0]
	s_nop 0
	v_fma_mix_f32 v14, v67, v72, v14 op_sel:[0,1,0] op_sel_hi:[1,1,0]
	s_nop 0
	v_fma_mix_f32 v14, v88, v73, v14 op_sel_hi:[1,1,0]
	s_nop 0
	v_fma_mix_f32 v14, v89, v73, v14 op_sel:[0,1,0] op_sel_hi:[1,1,0]
	s_nop 0
	v_fma_mix_f32 v14, v91, v74, v14 op_sel_hi:[1,1,0]
	s_nop 0
	v_fma_mix_f32 v14, v93, v74, v14 op_sel:[0,1,0] op_sel_hi:[1,1,0]
	s_nop 0
	v_fma_mix_f32 v14, v95, v75, v14 op_sel_hi:[1,1,0]
	s_nop 0
	v_fma_mix_f32 v14, v97, v75, v14 op_sel:[0,1,0] op_sel_hi:[1,1,0]
	s_nop 0
	v_fma_mixlo_f16 v14, v14, v19, 0 op_sel:[0,1,0] op_sel_hi:[0,1,0]
	v_add_f16_sdwa v71, v54, v14 dst_sel:DWORD dst_unused:UNUSED_PAD src0_sel:WORD_1 src1_sel:DWORD
	;; [unrolled: 36-line block ×4, first 2 shown]
	ds_read_b128 v[54:57], v27 offset:768
	s_waitcnt lgkmcnt(0)
	v_fma_mix_f32 v14, v21, v54, 0 op_sel_hi:[1,1,0]
	s_nop 0
	v_fma_mix_f32 v14, v33, v54, v14 op_sel:[0,1,0] op_sel_hi:[1,1,0]
	s_nop 0
	v_fma_mix_f32 v14, v34, v55, v14 op_sel_hi:[1,1,0]
	s_nop 0
	v_fma_mix_f32 v14, v35, v55, v14 op_sel:[0,1,0] op_sel_hi:[1,1,0]
	s_nop 0
	v_fma_mix_f32 v14, v36, v56, v14 op_sel_hi:[1,1,0]
	s_nop 0
	v_fma_mix_f32 v14, v37, v56, v14 op_sel:[0,1,0] op_sel_hi:[1,1,0]
	s_nop 0
	v_fma_mix_f32 v14, v38, v57, v14 op_sel_hi:[1,1,0]
	s_nop 0
	v_fma_mix_f32 v14, v39, v57, v14 op_sel:[0,1,0] op_sel_hi:[1,1,0]
	s_nop 0
	v_fma_mixlo_f16 v14, v14, v18, 0 op_sel_hi:[0,1,0]
	v_add_f16_e32 v76, v59, v14
	v_fma_mix_f32 v14, v40, v54, 0 op_sel_hi:[1,1,0]
	s_nop 0
	v_fma_mix_f32 v14, v41, v54, v14 op_sel:[0,1,0] op_sel_hi:[1,1,0]
	s_nop 0
	v_fma_mix_f32 v14, v42, v55, v14 op_sel_hi:[1,1,0]
	s_nop 0
	v_fma_mix_f32 v14, v43, v55, v14 op_sel:[0,1,0] op_sel_hi:[1,1,0]
	s_nop 0
	;; [unrolled: 4-line block ×4, first 2 shown]
	v_fma_mixlo_f16 v14, v14, v18, 0 op_sel:[0,1,0] op_sel_hi:[0,1,0]
	v_add_f16_sdwa v77, v59, v14 dst_sel:DWORD dst_unused:UNUSED_PAD src0_sel:WORD_1 src1_sel:DWORD
	v_fma_mix_f32 v14, v48, v54, 0 op_sel_hi:[1,1,0]
	s_nop 0
	v_fma_mix_f32 v14, v49, v54, v14 op_sel:[0,1,0] op_sel_hi:[1,1,0]
	s_nop 0
	v_fma_mix_f32 v14, v50, v55, v14 op_sel_hi:[1,1,0]
	s_nop 0
	v_fma_mix_f32 v14, v51, v55, v14 op_sel:[0,1,0] op_sel_hi:[1,1,0]
	s_nop 0
	;; [unrolled: 4-line block ×4, first 2 shown]
	v_fma_mixlo_f16 v14, v14, v19, 0 op_sel_hi:[0,1,0]
	v_add_f16_e32 v78, v58, v14
	v_fma_mix_f32 v14, v66, v54, 0 op_sel_hi:[1,1,0]
	s_nop 0
	v_fma_mix_f32 v14, v67, v54, v14 op_sel:[0,1,0] op_sel_hi:[1,1,0]
	s_nop 0
	v_fma_mix_f32 v14, v88, v55, v14 op_sel_hi:[1,1,0]
	s_nop 0
	v_fma_mix_f32 v14, v89, v55, v14 op_sel:[0,1,0] op_sel_hi:[1,1,0]
	s_nop 0
	;; [unrolled: 4-line block ×3, first 2 shown]
	v_fma_mix_f32 v14, v95, v57, v14 op_sel_hi:[1,1,0]
	s_nop 0
	v_fma_mix_f32 v14, v97, v57, v14 op_sel:[0,1,0] op_sel_hi:[1,1,0]
	ds_read_b128 v[54:57], v27 offset:1024
	v_fma_mixlo_f16 v14, v14, v19, 0 op_sel:[0,1,0] op_sel_hi:[0,1,0]
	v_add_f16_sdwa v79, v58, v14 dst_sel:DWORD dst_unused:UNUSED_PAD src0_sel:WORD_1 src1_sel:DWORD
	s_waitcnt lgkmcnt(0)
	v_fma_mix_f32 v14, v21, v54, 0 op_sel_hi:[1,1,0]
	s_nop 0
	v_fma_mix_f32 v14, v33, v54, v14 op_sel:[0,1,0] op_sel_hi:[1,1,0]
	s_nop 0
	v_fma_mix_f32 v14, v34, v55, v14 op_sel_hi:[1,1,0]
	s_nop 0
	v_fma_mix_f32 v14, v35, v55, v14 op_sel:[0,1,0] op_sel_hi:[1,1,0]
	s_nop 0
	;; [unrolled: 4-line block ×4, first 2 shown]
	v_fma_mixlo_f16 v14, v14, v18, 0 op_sel_hi:[0,1,0]
	v_add_f16_e32 v84, v61, v14
	v_fma_mix_f32 v14, v40, v54, 0 op_sel_hi:[1,1,0]
	s_nop 0
	v_fma_mix_f32 v14, v41, v54, v14 op_sel:[0,1,0] op_sel_hi:[1,1,0]
	s_nop 0
	v_fma_mix_f32 v14, v42, v55, v14 op_sel_hi:[1,1,0]
	s_nop 0
	v_fma_mix_f32 v14, v43, v55, v14 op_sel:[0,1,0] op_sel_hi:[1,1,0]
	s_nop 0
	;; [unrolled: 4-line block ×4, first 2 shown]
	v_fma_mixlo_f16 v14, v14, v18, 0 op_sel:[0,1,0] op_sel_hi:[0,1,0]
	v_add_f16_sdwa v85, v61, v14 dst_sel:DWORD dst_unused:UNUSED_PAD src0_sel:WORD_1 src1_sel:DWORD
	v_fma_mix_f32 v14, v48, v54, 0 op_sel_hi:[1,1,0]
	s_nop 0
	v_fma_mix_f32 v14, v49, v54, v14 op_sel:[0,1,0] op_sel_hi:[1,1,0]
	s_nop 0
	v_fma_mix_f32 v14, v50, v55, v14 op_sel_hi:[1,1,0]
	s_nop 0
	v_fma_mix_f32 v14, v51, v55, v14 op_sel:[0,1,0] op_sel_hi:[1,1,0]
	s_nop 0
	;; [unrolled: 4-line block ×4, first 2 shown]
	v_fma_mixlo_f16 v14, v14, v19, 0 op_sel_hi:[0,1,0]
	v_add_f16_e32 v86, v60, v14
	v_fma_mix_f32 v14, v66, v54, 0 op_sel_hi:[1,1,0]
	s_nop 0
	v_fma_mix_f32 v14, v67, v54, v14 op_sel:[0,1,0] op_sel_hi:[1,1,0]
	s_nop 0
	v_fma_mix_f32 v14, v88, v55, v14 op_sel_hi:[1,1,0]
	s_nop 0
	v_fma_mix_f32 v14, v89, v55, v14 op_sel:[0,1,0] op_sel_hi:[1,1,0]
	s_nop 0
	;; [unrolled: 4-line block ×3, first 2 shown]
	v_fma_mix_f32 v14, v95, v57, v14 op_sel_hi:[1,1,0]
	s_nop 0
	v_fma_mix_f32 v14, v97, v57, v14 op_sel:[0,1,0] op_sel_hi:[1,1,0]
	ds_read_b128 v[54:57], v27 offset:1280
	v_fma_mixlo_f16 v14, v14, v19, 0 op_sel:[0,1,0] op_sel_hi:[0,1,0]
	v_add_f16_sdwa v87, v60, v14 dst_sel:DWORD dst_unused:UNUSED_PAD src0_sel:WORD_1 src1_sel:DWORD
	s_waitcnt lgkmcnt(0)
	v_fma_mix_f32 v14, v21, v54, 0 op_sel_hi:[1,1,0]
	s_nop 0
	v_fma_mix_f32 v14, v33, v54, v14 op_sel:[0,1,0] op_sel_hi:[1,1,0]
	s_nop 0
	v_fma_mix_f32 v14, v34, v55, v14 op_sel_hi:[1,1,0]
	s_nop 0
	v_fma_mix_f32 v14, v35, v55, v14 op_sel:[0,1,0] op_sel_hi:[1,1,0]
	s_nop 0
	;; [unrolled: 4-line block ×4, first 2 shown]
	v_fma_mixlo_f16 v14, v14, v18, 0 op_sel_hi:[0,1,0]
	v_add_f16_e32 v80, v63, v14
	v_fma_mix_f32 v14, v40, v54, 0 op_sel_hi:[1,1,0]
	s_nop 0
	v_fma_mix_f32 v14, v41, v54, v14 op_sel:[0,1,0] op_sel_hi:[1,1,0]
	s_nop 0
	v_fma_mix_f32 v14, v42, v55, v14 op_sel_hi:[1,1,0]
	s_nop 0
	v_fma_mix_f32 v14, v43, v55, v14 op_sel:[0,1,0] op_sel_hi:[1,1,0]
	s_nop 0
	v_fma_mix_f32 v14, v44, v56, v14 op_sel_hi:[1,1,0]
	s_nop 0
	v_fma_mix_f32 v14, v45, v56, v14 op_sel:[0,1,0] op_sel_hi:[1,1,0]
	s_nop 0
	v_fma_mix_f32 v14, v46, v57, v14 op_sel_hi:[1,1,0]
	s_nop 0
	v_fma_mix_f32 v14, v47, v57, v14 op_sel:[0,1,0] op_sel_hi:[1,1,0]
	s_nop 0
	v_fma_mixlo_f16 v14, v14, v18, 0 op_sel:[0,1,0] op_sel_hi:[0,1,0]
	v_add_f16_sdwa v81, v63, v14 dst_sel:DWORD dst_unused:UNUSED_PAD src0_sel:WORD_1 src1_sel:DWORD
	v_fma_mix_f32 v14, v48, v54, 0 op_sel_hi:[1,1,0]
	s_nop 0
	v_fma_mix_f32 v14, v49, v54, v14 op_sel:[0,1,0] op_sel_hi:[1,1,0]
	s_nop 0
	v_fma_mix_f32 v14, v50, v55, v14 op_sel_hi:[1,1,0]
	s_nop 0
	v_fma_mix_f32 v14, v51, v55, v14 op_sel:[0,1,0] op_sel_hi:[1,1,0]
	s_nop 0
	;; [unrolled: 4-line block ×4, first 2 shown]
	v_fma_mixlo_f16 v14, v14, v19, 0 op_sel_hi:[0,1,0]
	v_add_f16_e32 v82, v62, v14
	v_fma_mix_f32 v14, v66, v54, 0 op_sel_hi:[1,1,0]
	s_nop 0
	v_fma_mix_f32 v14, v67, v54, v14 op_sel:[0,1,0] op_sel_hi:[1,1,0]
	s_nop 0
	v_fma_mix_f32 v14, v88, v55, v14 op_sel_hi:[1,1,0]
	s_nop 0
	v_fma_mix_f32 v14, v89, v55, v14 op_sel:[0,1,0] op_sel_hi:[1,1,0]
	s_nop 0
	;; [unrolled: 4-line block ×3, first 2 shown]
	v_fma_mix_f32 v14, v95, v57, v14 op_sel_hi:[1,1,0]
	s_nop 0
	v_fma_mix_f32 v14, v97, v57, v14 op_sel:[0,1,0] op_sel_hi:[1,1,0]
	ds_read_b128 v[54:57], v27 offset:1536
	v_fma_mixlo_f16 v14, v14, v19, 0 op_sel:[0,1,0] op_sel_hi:[0,1,0]
	v_add_f16_sdwa v83, v62, v14 dst_sel:DWORD dst_unused:UNUSED_PAD src0_sel:WORD_1 src1_sel:DWORD
	s_waitcnt lgkmcnt(0)
	v_fma_mix_f32 v14, v21, v54, 0 op_sel_hi:[1,1,0]
	s_nop 0
	v_fma_mix_f32 v14, v33, v54, v14 op_sel:[0,1,0] op_sel_hi:[1,1,0]
	s_nop 0
	v_fma_mix_f32 v14, v34, v55, v14 op_sel_hi:[1,1,0]
	s_nop 0
	v_fma_mix_f32 v14, v35, v55, v14 op_sel:[0,1,0] op_sel_hi:[1,1,0]
	s_nop 0
	;; [unrolled: 4-line block ×4, first 2 shown]
	v_fma_mixlo_f16 v14, v14, v18, 0 op_sel_hi:[0,1,0]
	v_add_f16_e32 v21, v20, v14
	v_fma_mix_f32 v14, v40, v54, 0 op_sel_hi:[1,1,0]
	s_nop 0
	v_fma_mix_f32 v14, v41, v54, v14 op_sel:[0,1,0] op_sel_hi:[1,1,0]
	s_nop 0
	v_fma_mix_f32 v14, v42, v55, v14 op_sel_hi:[1,1,0]
	s_nop 0
	v_fma_mix_f32 v14, v43, v55, v14 op_sel:[0,1,0] op_sel_hi:[1,1,0]
	s_nop 0
	;; [unrolled: 4-line block ×4, first 2 shown]
	v_fma_mixlo_f16 v14, v14, v18, 0 op_sel:[0,1,0] op_sel_hi:[0,1,0]
	v_add_f16_sdwa v20, v20, v14 dst_sel:DWORD dst_unused:UNUSED_PAD src0_sel:WORD_1 src1_sel:DWORD
	v_fma_mix_f32 v14, v48, v54, 0 op_sel_hi:[1,1,0]
	s_nop 0
	v_fma_mix_f32 v14, v49, v54, v14 op_sel:[0,1,0] op_sel_hi:[1,1,0]
	s_nop 0
	v_fma_mix_f32 v14, v50, v55, v14 op_sel_hi:[1,1,0]
	s_nop 0
	v_fma_mix_f32 v14, v51, v55, v14 op_sel:[0,1,0] op_sel_hi:[1,1,0]
	s_nop 0
	;; [unrolled: 4-line block ×4, first 2 shown]
	v_fma_mixlo_f16 v14, v14, v19, 0 op_sel_hi:[0,1,0]
	v_add_f16_e32 v15, v32, v14
	v_fma_mix_f32 v14, v66, v54, 0 op_sel_hi:[1,1,0]
	s_nop 0
	v_fma_mix_f32 v14, v67, v54, v14 op_sel:[0,1,0] op_sel_hi:[1,1,0]
	s_nop 0
	v_fma_mix_f32 v14, v88, v55, v14 op_sel_hi:[1,1,0]
	s_nop 0
	v_fma_mix_f32 v14, v89, v55, v14 op_sel:[0,1,0] op_sel_hi:[1,1,0]
	s_nop 0
	;; [unrolled: 4-line block ×4, first 2 shown]
	v_fma_mixlo_f16 v14, v14, v19, 0 op_sel:[0,1,0] op_sel_hi:[0,1,0]
	v_add_f16_sdwa v14, v32, v14 dst_sel:DWORD dst_unused:UNUSED_PAD src0_sel:WORD_1 src1_sel:DWORD
	global_load_dwordx4 v[32:35], v[12:13], off
	v_lshl_add_u64 v[12:13], v[12:13], 0, s[0:1]
	global_load_dwordx4 v[64:67], v[12:13], off
	s_waitcnt vmcnt(1)
	v_sub_u32_sdwa v36, v32, v31 dst_sel:DWORD dst_unused:UNUSED_PAD src0_sel:BYTE_0 src1_sel:DWORD
	v_sub_u32_sdwa v37, v32, v31 dst_sel:DWORD dst_unused:UNUSED_PAD src0_sel:BYTE_1 src1_sel:DWORD
	v_sub_u32_sdwa v38, v32, v31 dst_sel:DWORD dst_unused:UNUSED_PAD src0_sel:BYTE_2 src1_sel:DWORD
	v_sub_u32_sdwa v32, v32, v31 dst_sel:DWORD dst_unused:UNUSED_PAD src0_sel:BYTE_3 src1_sel:DWORD
	v_cvt_f32_i32_e32 v32, v32
	v_cvt_f32_i32_e32 v36, v36
	;; [unrolled: 1-line block ×4, first 2 shown]
	v_cvt_f16_f32_e32 v39, v32
	s_waitcnt vmcnt(0)
	v_sub_u32_sdwa v32, v64, v31 dst_sel:DWORD dst_unused:UNUSED_PAD src0_sel:BYTE_0 src1_sel:DWORD
	v_cvt_f32_i32_e32 v32, v32
	v_cvt_f16_f32_e32 v36, v36
	v_cvt_f16_f32_e32 v37, v37
	;; [unrolled: 1-line block ×4, first 2 shown]
	v_sub_u32_sdwa v32, v64, v31 dst_sel:DWORD dst_unused:UNUSED_PAD src0_sel:BYTE_1 src1_sel:DWORD
	v_cvt_f32_i32_e32 v32, v32
	v_cvt_f16_f32_e32 v42, v32
	v_sub_u32_sdwa v32, v64, v31 dst_sel:DWORD dst_unused:UNUSED_PAD src0_sel:BYTE_2 src1_sel:DWORD
	v_cvt_f32_i32_e32 v32, v32
	v_cvt_f16_f32_e32 v44, v32
	v_sub_u32_sdwa v32, v64, v31 dst_sel:DWORD dst_unused:UNUSED_PAD src0_sel:BYTE_3 src1_sel:DWORD
	v_cvt_f32_i32_e32 v32, v32
	v_cvt_f16_f32_e32 v46, v32
	v_sub_u32_sdwa v32, v33, v30 dst_sel:DWORD dst_unused:UNUSED_PAD src0_sel:BYTE_0 src1_sel:DWORD
	v_cvt_f32_i32_e32 v32, v32
	v_cvt_f16_f32_e32 v41, v32
	v_sub_u32_sdwa v32, v33, v30 dst_sel:DWORD dst_unused:UNUSED_PAD src0_sel:BYTE_1 src1_sel:DWORD
	v_cvt_f32_i32_e32 v32, v32
	v_cvt_f16_f32_e32 v43, v32
	v_sub_u32_sdwa v32, v33, v30 dst_sel:DWORD dst_unused:UNUSED_PAD src0_sel:BYTE_2 src1_sel:DWORD
	v_cvt_f32_i32_e32 v32, v32
	v_cvt_f16_f32_e32 v45, v32
	v_sub_u32_sdwa v32, v33, v30 dst_sel:DWORD dst_unused:UNUSED_PAD src0_sel:BYTE_3 src1_sel:DWORD
	v_cvt_f32_i32_e32 v32, v32
	v_cvt_f16_f32_e32 v47, v32
	v_sub_u32_sdwa v32, v65, v30 dst_sel:DWORD dst_unused:UNUSED_PAD src0_sel:BYTE_0 src1_sel:DWORD
	v_cvt_f32_i32_e32 v32, v32
	v_cvt_f16_f32_e32 v48, v32
	;; [unrolled: 12-line block ×6, first 2 shown]
	v_sub_u32_sdwa v32, v67, v28 dst_sel:DWORD dst_unused:UNUSED_PAD src0_sel:BYTE_1 src1_sel:DWORD
	v_cvt_f32_i32_e32 v32, v32
	v_cvt_f16_f32_e32 v65, v32
	v_sub_u32_sdwa v32, v67, v28 dst_sel:DWORD dst_unused:UNUSED_PAD src0_sel:BYTE_2 src1_sel:DWORD
	v_cvt_f32_i32_e32 v32, v32
	v_cvt_f16_f32_e32 v66, v32
	v_sub_u32_sdwa v32, v67, v28 dst_sel:DWORD dst_unused:UNUSED_PAD src0_sel:BYTE_3 src1_sel:DWORD
	v_cvt_f32_i32_e32 v32, v32
	v_cvt_f16_f32_e32 v67, v32
	v_fma_mix_f32 v32, v36, v8, 0 op_sel_hi:[1,1,0]
	s_nop 0
	v_fma_mix_f32 v32, v37, v8, v32 op_sel:[0,1,0] op_sel_hi:[1,1,0]
	s_nop 0
	v_fma_mix_f32 v32, v38, v9, v32 op_sel_hi:[1,1,0]
	s_nop 0
	v_fma_mix_f32 v32, v39, v9, v32 op_sel:[0,1,0] op_sel_hi:[1,1,0]
	s_nop 0
	;; [unrolled: 4-line block ×4, first 2 shown]
	v_fma_mixlo_f16 v32, v32, v18, 0 op_sel_hi:[0,1,0]
	v_add_f16_e32 v35, v90, v32
	v_fma_mix_f32 v32, v41, v8, 0 op_sel_hi:[1,1,0]
	s_nop 0
	v_fma_mix_f32 v32, v43, v8, v32 op_sel:[0,1,0] op_sel_hi:[1,1,0]
	s_nop 0
	v_fma_mix_f32 v32, v45, v9, v32 op_sel_hi:[1,1,0]
	s_nop 0
	v_fma_mix_f32 v32, v47, v9, v32 op_sel:[0,1,0] op_sel_hi:[1,1,0]
	s_nop 0
	;; [unrolled: 4-line block ×4, first 2 shown]
	v_fma_mixlo_f16 v32, v32, v18, 0 op_sel:[0,1,0] op_sel_hi:[0,1,0]
	v_add_f16_e32 v34, v92, v32
	v_fma_mix_f32 v32, v49, v8, 0 op_sel_hi:[1,1,0]
	s_nop 0
	v_fma_mix_f32 v32, v51, v8, v32 op_sel:[0,1,0] op_sel_hi:[1,1,0]
	s_nop 0
	v_fma_mix_f32 v32, v53, v9, v32 op_sel_hi:[1,1,0]
	s_nop 0
	v_fma_mix_f32 v32, v55, v9, v32 op_sel:[0,1,0] op_sel_hi:[1,1,0]
	s_nop 0
	;; [unrolled: 4-line block ×4, first 2 shown]
	v_fma_mixlo_f16 v32, v32, v19, 0 op_sel_hi:[0,1,0]
	v_add_f16_e32 v33, v94, v32
	v_fma_mix_f32 v32, v57, v8, 0 op_sel_hi:[1,1,0]
	s_nop 0
	v_fma_mix_f32 v8, v59, v8, v32 op_sel:[0,1,0] op_sel_hi:[1,1,0]
	s_nop 0
	v_fma_mix_f32 v8, v61, v9, v8 op_sel_hi:[1,1,0]
	s_nop 0
	v_fma_mix_f32 v8, v63, v9, v8 op_sel:[0,1,0] op_sel_hi:[1,1,0]
	s_nop 0
	;; [unrolled: 4-line block ×4, first 2 shown]
	v_fma_mixlo_f16 v8, v8, v19, 0 op_sel:[0,1,0] op_sel_hi:[0,1,0]
	v_add_f16_e32 v32, v96, v8
	ds_read_b128 v[8:11], v27 offset:272
	s_waitcnt lgkmcnt(0)
	v_fma_mix_f32 v88, v36, v8, 0 op_sel_hi:[1,1,0]
	s_nop 0
	v_fma_mix_f32 v88, v37, v8, v88 op_sel:[0,1,0] op_sel_hi:[1,1,0]
	s_nop 0
	v_fma_mix_f32 v88, v38, v9, v88 op_sel_hi:[1,1,0]
	s_nop 0
	v_fma_mix_f32 v88, v39, v9, v88 op_sel:[0,1,0] op_sel_hi:[1,1,0]
	s_nop 0
	;; [unrolled: 4-line block ×4, first 2 shown]
	v_fma_mixlo_f16 v88, v88, v18, 0 op_sel_hi:[0,1,0]
	v_add_f16_e32 v68, v68, v88
	v_fma_mix_f32 v88, v41, v8, 0 op_sel_hi:[1,1,0]
	s_nop 0
	v_fma_mix_f32 v88, v43, v8, v88 op_sel:[0,1,0] op_sel_hi:[1,1,0]
	s_nop 0
	v_fma_mix_f32 v88, v45, v9, v88 op_sel_hi:[1,1,0]
	s_nop 0
	v_fma_mix_f32 v88, v47, v9, v88 op_sel:[0,1,0] op_sel_hi:[1,1,0]
	s_nop 0
	;; [unrolled: 4-line block ×4, first 2 shown]
	v_fma_mixlo_f16 v88, v88, v18, 0 op_sel:[0,1,0] op_sel_hi:[0,1,0]
	v_add_f16_e32 v69, v69, v88
	v_fma_mix_f32 v88, v49, v8, 0 op_sel_hi:[1,1,0]
	s_nop 0
	v_fma_mix_f32 v88, v51, v8, v88 op_sel:[0,1,0] op_sel_hi:[1,1,0]
	s_nop 0
	v_fma_mix_f32 v88, v53, v9, v88 op_sel_hi:[1,1,0]
	s_nop 0
	v_fma_mix_f32 v88, v55, v9, v88 op_sel:[0,1,0] op_sel_hi:[1,1,0]
	s_nop 0
	;; [unrolled: 4-line block ×4, first 2 shown]
	v_fma_mixlo_f16 v88, v88, v19, 0 op_sel_hi:[0,1,0]
	v_add_f16_e32 v70, v70, v88
	v_fma_mix_f32 v88, v57, v8, 0 op_sel_hi:[1,1,0]
	s_nop 0
	v_fma_mix_f32 v8, v59, v8, v88 op_sel:[0,1,0] op_sel_hi:[1,1,0]
	s_nop 0
	v_fma_mix_f32 v8, v61, v9, v8 op_sel_hi:[1,1,0]
	s_nop 0
	v_fma_mix_f32 v8, v63, v9, v8 op_sel:[0,1,0] op_sel_hi:[1,1,0]
	s_nop 0
	;; [unrolled: 4-line block ×4, first 2 shown]
	v_fma_mixlo_f16 v8, v8, v19, 0 op_sel:[0,1,0] op_sel_hi:[0,1,0]
	v_add_f16_e32 v71, v71, v8
	ds_read_b128 v[8:11], v27 offset:528
	s_waitcnt lgkmcnt(0)
	v_fma_mix_f32 v88, v36, v8, 0 op_sel_hi:[1,1,0]
	s_nop 0
	v_fma_mix_f32 v88, v37, v8, v88 op_sel:[0,1,0] op_sel_hi:[1,1,0]
	s_nop 0
	v_fma_mix_f32 v88, v38, v9, v88 op_sel_hi:[1,1,0]
	s_nop 0
	v_fma_mix_f32 v88, v39, v9, v88 op_sel:[0,1,0] op_sel_hi:[1,1,0]
	s_nop 0
	;; [unrolled: 4-line block ×4, first 2 shown]
	v_fma_mixlo_f16 v88, v88, v18, 0 op_sel_hi:[0,1,0]
	v_add_f16_e32 v72, v72, v88
	v_fma_mix_f32 v88, v41, v8, 0 op_sel_hi:[1,1,0]
	s_nop 0
	v_fma_mix_f32 v88, v43, v8, v88 op_sel:[0,1,0] op_sel_hi:[1,1,0]
	s_nop 0
	v_fma_mix_f32 v88, v45, v9, v88 op_sel_hi:[1,1,0]
	s_nop 0
	v_fma_mix_f32 v88, v47, v9, v88 op_sel:[0,1,0] op_sel_hi:[1,1,0]
	s_nop 0
	;; [unrolled: 4-line block ×4, first 2 shown]
	v_fma_mixlo_f16 v88, v88, v18, 0 op_sel:[0,1,0] op_sel_hi:[0,1,0]
	v_add_f16_e32 v73, v73, v88
	v_fma_mix_f32 v88, v49, v8, 0 op_sel_hi:[1,1,0]
	s_nop 0
	v_fma_mix_f32 v88, v51, v8, v88 op_sel:[0,1,0] op_sel_hi:[1,1,0]
	s_nop 0
	v_fma_mix_f32 v88, v53, v9, v88 op_sel_hi:[1,1,0]
	s_nop 0
	v_fma_mix_f32 v88, v55, v9, v88 op_sel:[0,1,0] op_sel_hi:[1,1,0]
	s_nop 0
	;; [unrolled: 4-line block ×4, first 2 shown]
	v_fma_mixlo_f16 v88, v88, v19, 0 op_sel_hi:[0,1,0]
	v_add_f16_e32 v74, v74, v88
	v_fma_mix_f32 v88, v57, v8, 0 op_sel_hi:[1,1,0]
	s_nop 0
	v_fma_mix_f32 v8, v59, v8, v88 op_sel:[0,1,0] op_sel_hi:[1,1,0]
	s_nop 0
	v_fma_mix_f32 v8, v61, v9, v8 op_sel_hi:[1,1,0]
	s_nop 0
	v_fma_mix_f32 v8, v63, v9, v8 op_sel:[0,1,0] op_sel_hi:[1,1,0]
	s_nop 0
	;; [unrolled: 4-line block ×4, first 2 shown]
	v_fma_mixlo_f16 v8, v8, v19, 0 op_sel:[0,1,0] op_sel_hi:[0,1,0]
	v_add_f16_e32 v75, v75, v8
	ds_read_b128 v[8:11], v27 offset:784
	s_waitcnt lgkmcnt(0)
	v_fma_mix_f32 v88, v36, v8, 0 op_sel_hi:[1,1,0]
	s_nop 0
	v_fma_mix_f32 v88, v37, v8, v88 op_sel:[0,1,0] op_sel_hi:[1,1,0]
	s_nop 0
	v_fma_mix_f32 v88, v38, v9, v88 op_sel_hi:[1,1,0]
	s_nop 0
	v_fma_mix_f32 v88, v39, v9, v88 op_sel:[0,1,0] op_sel_hi:[1,1,0]
	s_nop 0
	;; [unrolled: 4-line block ×4, first 2 shown]
	v_fma_mixlo_f16 v88, v88, v18, 0 op_sel_hi:[0,1,0]
	v_add_f16_e32 v76, v76, v88
	v_fma_mix_f32 v88, v41, v8, 0 op_sel_hi:[1,1,0]
	s_nop 0
	v_fma_mix_f32 v88, v43, v8, v88 op_sel:[0,1,0] op_sel_hi:[1,1,0]
	s_nop 0
	v_fma_mix_f32 v88, v45, v9, v88 op_sel_hi:[1,1,0]
	s_nop 0
	v_fma_mix_f32 v88, v47, v9, v88 op_sel:[0,1,0] op_sel_hi:[1,1,0]
	s_nop 0
	;; [unrolled: 4-line block ×4, first 2 shown]
	v_fma_mixlo_f16 v88, v88, v18, 0 op_sel:[0,1,0] op_sel_hi:[0,1,0]
	v_add_f16_e32 v77, v77, v88
	v_fma_mix_f32 v88, v49, v8, 0 op_sel_hi:[1,1,0]
	s_nop 0
	v_fma_mix_f32 v88, v51, v8, v88 op_sel:[0,1,0] op_sel_hi:[1,1,0]
	s_nop 0
	v_fma_mix_f32 v88, v53, v9, v88 op_sel_hi:[1,1,0]
	s_nop 0
	v_fma_mix_f32 v88, v55, v9, v88 op_sel:[0,1,0] op_sel_hi:[1,1,0]
	s_nop 0
	v_fma_mix_f32 v88, v56, v10, v88 op_sel_hi:[1,1,0]
	s_nop 0
	v_fma_mix_f32 v88, v58, v10, v88 op_sel:[0,1,0] op_sel_hi:[1,1,0]
	s_nop 0
	v_fma_mix_f32 v88, v60, v11, v88 op_sel_hi:[1,1,0]
	s_nop 0
	v_fma_mix_f32 v88, v62, v11, v88 op_sel:[0,1,0] op_sel_hi:[1,1,0]
	s_nop 0
	v_fma_mixlo_f16 v88, v88, v19, 0 op_sel_hi:[0,1,0]
	v_add_f16_e32 v78, v78, v88
	v_fma_mix_f32 v88, v57, v8, 0 op_sel_hi:[1,1,0]
	s_nop 0
	v_fma_mix_f32 v8, v59, v8, v88 op_sel:[0,1,0] op_sel_hi:[1,1,0]
	s_nop 0
	v_fma_mix_f32 v8, v61, v9, v8 op_sel_hi:[1,1,0]
	s_nop 0
	v_fma_mix_f32 v8, v63, v9, v8 op_sel:[0,1,0] op_sel_hi:[1,1,0]
	s_nop 0
	;; [unrolled: 4-line block ×4, first 2 shown]
	v_fma_mixlo_f16 v8, v8, v19, 0 op_sel:[0,1,0] op_sel_hi:[0,1,0]
	v_add_f16_e32 v79, v79, v8
	ds_read_b128 v[8:11], v27 offset:1040
	s_waitcnt lgkmcnt(0)
	v_fma_mix_f32 v88, v36, v8, 0 op_sel_hi:[1,1,0]
	s_nop 0
	v_fma_mix_f32 v88, v37, v8, v88 op_sel:[0,1,0] op_sel_hi:[1,1,0]
	s_nop 0
	v_fma_mix_f32 v88, v38, v9, v88 op_sel_hi:[1,1,0]
	s_nop 0
	v_fma_mix_f32 v88, v39, v9, v88 op_sel:[0,1,0] op_sel_hi:[1,1,0]
	s_nop 0
	;; [unrolled: 4-line block ×4, first 2 shown]
	v_fma_mixlo_f16 v88, v88, v18, 0 op_sel_hi:[0,1,0]
	v_add_f16_e32 v84, v84, v88
	v_fma_mix_f32 v88, v41, v8, 0 op_sel_hi:[1,1,0]
	s_nop 0
	v_fma_mix_f32 v88, v43, v8, v88 op_sel:[0,1,0] op_sel_hi:[1,1,0]
	s_nop 0
	v_fma_mix_f32 v88, v45, v9, v88 op_sel_hi:[1,1,0]
	s_nop 0
	v_fma_mix_f32 v88, v47, v9, v88 op_sel:[0,1,0] op_sel_hi:[1,1,0]
	s_nop 0
	;; [unrolled: 4-line block ×4, first 2 shown]
	v_fma_mixlo_f16 v88, v88, v18, 0 op_sel:[0,1,0] op_sel_hi:[0,1,0]
	v_add_f16_e32 v85, v85, v88
	v_fma_mix_f32 v88, v49, v8, 0 op_sel_hi:[1,1,0]
	s_nop 0
	v_fma_mix_f32 v88, v51, v8, v88 op_sel:[0,1,0] op_sel_hi:[1,1,0]
	s_nop 0
	v_fma_mix_f32 v88, v53, v9, v88 op_sel_hi:[1,1,0]
	s_nop 0
	v_fma_mix_f32 v88, v55, v9, v88 op_sel:[0,1,0] op_sel_hi:[1,1,0]
	s_nop 0
	;; [unrolled: 4-line block ×4, first 2 shown]
	v_fma_mixlo_f16 v88, v88, v19, 0 op_sel_hi:[0,1,0]
	v_add_f16_e32 v86, v86, v88
	v_fma_mix_f32 v88, v57, v8, 0 op_sel_hi:[1,1,0]
	s_nop 0
	v_fma_mix_f32 v8, v59, v8, v88 op_sel:[0,1,0] op_sel_hi:[1,1,0]
	s_nop 0
	v_fma_mix_f32 v8, v61, v9, v8 op_sel_hi:[1,1,0]
	s_nop 0
	v_fma_mix_f32 v8, v63, v9, v8 op_sel:[0,1,0] op_sel_hi:[1,1,0]
	s_nop 0
	;; [unrolled: 4-line block ×4, first 2 shown]
	v_fma_mixlo_f16 v8, v8, v19, 0 op_sel:[0,1,0] op_sel_hi:[0,1,0]
	v_add_f16_e32 v87, v87, v8
	ds_read_b128 v[8:11], v27 offset:1296
	s_waitcnt lgkmcnt(0)
	v_fma_mix_f32 v88, v36, v8, 0 op_sel_hi:[1,1,0]
	s_nop 0
	v_fma_mix_f32 v88, v37, v8, v88 op_sel:[0,1,0] op_sel_hi:[1,1,0]
	s_nop 0
	v_fma_mix_f32 v88, v38, v9, v88 op_sel_hi:[1,1,0]
	s_nop 0
	v_fma_mix_f32 v88, v39, v9, v88 op_sel:[0,1,0] op_sel_hi:[1,1,0]
	s_nop 0
	;; [unrolled: 4-line block ×4, first 2 shown]
	v_fma_mixlo_f16 v88, v88, v18, 0 op_sel_hi:[0,1,0]
	v_add_f16_e32 v80, v80, v88
	v_fma_mix_f32 v88, v41, v8, 0 op_sel_hi:[1,1,0]
	s_nop 0
	v_fma_mix_f32 v88, v43, v8, v88 op_sel:[0,1,0] op_sel_hi:[1,1,0]
	s_nop 0
	v_fma_mix_f32 v88, v45, v9, v88 op_sel_hi:[1,1,0]
	s_nop 0
	v_fma_mix_f32 v88, v47, v9, v88 op_sel:[0,1,0] op_sel_hi:[1,1,0]
	s_nop 0
	;; [unrolled: 4-line block ×4, first 2 shown]
	v_fma_mixlo_f16 v88, v88, v18, 0 op_sel:[0,1,0] op_sel_hi:[0,1,0]
	v_add_f16_e32 v81, v81, v88
	v_fma_mix_f32 v88, v49, v8, 0 op_sel_hi:[1,1,0]
	s_nop 0
	v_fma_mix_f32 v88, v51, v8, v88 op_sel:[0,1,0] op_sel_hi:[1,1,0]
	s_nop 0
	v_fma_mix_f32 v88, v53, v9, v88 op_sel_hi:[1,1,0]
	s_nop 0
	v_fma_mix_f32 v88, v55, v9, v88 op_sel:[0,1,0] op_sel_hi:[1,1,0]
	s_nop 0
	;; [unrolled: 4-line block ×4, first 2 shown]
	v_fma_mixlo_f16 v88, v88, v19, 0 op_sel_hi:[0,1,0]
	v_add_f16_e32 v82, v82, v88
	v_fma_mix_f32 v88, v57, v8, 0 op_sel_hi:[1,1,0]
	s_nop 0
	v_fma_mix_f32 v8, v59, v8, v88 op_sel:[0,1,0] op_sel_hi:[1,1,0]
	s_nop 0
	v_fma_mix_f32 v8, v61, v9, v8 op_sel_hi:[1,1,0]
	s_nop 0
	v_fma_mix_f32 v8, v63, v9, v8 op_sel:[0,1,0] op_sel_hi:[1,1,0]
	s_nop 0
	v_fma_mix_f32 v8, v64, v10, v8 op_sel_hi:[1,1,0]
	s_nop 0
	v_fma_mix_f32 v8, v65, v10, v8 op_sel:[0,1,0] op_sel_hi:[1,1,0]
	s_nop 0
	v_fma_mix_f32 v8, v66, v11, v8 op_sel_hi:[1,1,0]
	s_nop 0
	v_fma_mix_f32 v8, v67, v11, v8 op_sel:[0,1,0] op_sel_hi:[1,1,0]
	s_nop 0
	v_fma_mixlo_f16 v8, v8, v19, 0 op_sel:[0,1,0] op_sel_hi:[0,1,0]
	v_add_f16_e32 v83, v83, v8
	ds_read_b128 v[8:11], v27 offset:1552
	s_waitcnt lgkmcnt(0)
	v_fma_mix_f32 v36, v36, v8, 0 op_sel_hi:[1,1,0]
	s_nop 0
	v_fma_mix_f32 v36, v37, v8, v36 op_sel:[0,1,0] op_sel_hi:[1,1,0]
	s_nop 0
	v_fma_mix_f32 v36, v38, v9, v36 op_sel_hi:[1,1,0]
	s_nop 0
	v_fma_mix_f32 v36, v39, v9, v36 op_sel:[0,1,0] op_sel_hi:[1,1,0]
	s_nop 0
	;; [unrolled: 4-line block ×4, first 2 shown]
	v_fma_mixlo_f16 v36, v36, v18, 0 op_sel_hi:[0,1,0]
	v_add_f16_e32 v36, v21, v36
	v_fma_mix_f32 v21, v41, v8, 0 op_sel_hi:[1,1,0]
	s_nop 0
	v_fma_mix_f32 v21, v43, v8, v21 op_sel:[0,1,0] op_sel_hi:[1,1,0]
	s_nop 0
	v_fma_mix_f32 v21, v45, v9, v21 op_sel_hi:[1,1,0]
	s_nop 0
	v_fma_mix_f32 v21, v47, v9, v21 op_sel:[0,1,0] op_sel_hi:[1,1,0]
	s_nop 0
	;; [unrolled: 4-line block ×4, first 2 shown]
	v_fma_mixlo_f16 v21, v21, v18, 0 op_sel:[0,1,0] op_sel_hi:[0,1,0]
	v_add_f16_e32 v37, v20, v21
	v_fma_mix_f32 v20, v49, v8, 0 op_sel_hi:[1,1,0]
	s_nop 0
	v_fma_mix_f32 v20, v51, v8, v20 op_sel:[0,1,0] op_sel_hi:[1,1,0]
	s_nop 0
	v_fma_mix_f32 v20, v53, v9, v20 op_sel_hi:[1,1,0]
	s_nop 0
	v_fma_mix_f32 v20, v55, v9, v20 op_sel:[0,1,0] op_sel_hi:[1,1,0]
	s_nop 0
	;; [unrolled: 4-line block ×4, first 2 shown]
	v_fma_mixlo_f16 v20, v20, v19, 0 op_sel_hi:[0,1,0]
	v_add_f16_e32 v38, v15, v20
	v_fma_mix_f32 v15, v57, v8, 0 op_sel_hi:[1,1,0]
	s_nop 0
	v_fma_mix_f32 v8, v59, v8, v15 op_sel:[0,1,0] op_sel_hi:[1,1,0]
	s_nop 0
	v_fma_mix_f32 v8, v61, v9, v8 op_sel_hi:[1,1,0]
	s_nop 0
	v_fma_mix_f32 v8, v63, v9, v8 op_sel:[0,1,0] op_sel_hi:[1,1,0]
	s_nop 0
	;; [unrolled: 4-line block ×4, first 2 shown]
	v_fma_mixlo_f16 v8, v8, v19, 0 op_sel:[0,1,0] op_sel_hi:[0,1,0]
	v_add_f16_e32 v39, v14, v8
	v_lshl_add_u64 v[8:9], v[12:13], 0, s[0:1]
	global_load_dwordx4 v[12:15], v[8:9], off
	v_lshl_add_u64 v[20:21], v[8:9], 0, s[0:1]
	global_load_dwordx4 v[8:11], v[20:21], off
	s_waitcnt vmcnt(1)
	v_sub_u32_sdwa v54, v14, v29 dst_sel:DWORD dst_unused:UNUSED_PAD src0_sel:BYTE_2 src1_sel:DWORD
	v_cvt_f32_i32_e32 v54, v54
	v_sub_u32_sdwa v40, v12, v31 dst_sel:DWORD dst_unused:UNUSED_PAD src0_sel:BYTE_0 src1_sel:DWORD
	v_cvt_f32_i32_e32 v40, v40
	v_sub_u32_sdwa v41, v12, v31 dst_sel:DWORD dst_unused:UNUSED_PAD src0_sel:BYTE_1 src1_sel:DWORD
	v_cvt_f16_f32_e32 v90, v54
	s_waitcnt vmcnt(0)
	v_sub_u32_sdwa v54, v10, v29 dst_sel:DWORD dst_unused:UNUSED_PAD src0_sel:BYTE_0 src1_sel:DWORD
	v_cvt_f32_i32_e32 v54, v54
	v_cvt_f32_i32_e32 v41, v41
	v_sub_u32_sdwa v42, v12, v31 dst_sel:DWORD dst_unused:UNUSED_PAD src0_sel:BYTE_2 src1_sel:DWORD
	v_cvt_f32_i32_e32 v42, v42
	v_cvt_f16_f32_e32 v91, v54
	v_sub_u32_sdwa v54, v10, v29 dst_sel:DWORD dst_unused:UNUSED_PAD src0_sel:BYTE_1 src1_sel:DWORD
	v_cvt_f32_i32_e32 v54, v54
	v_sub_u32_sdwa v12, v12, v31 dst_sel:DWORD dst_unused:UNUSED_PAD src0_sel:BYTE_3 src1_sel:DWORD
	v_cvt_f32_i32_e32 v12, v12
	v_sub_u32_sdwa v43, v8, v31 dst_sel:DWORD dst_unused:UNUSED_PAD src0_sel:BYTE_0 src1_sel:DWORD
	v_cvt_f16_f32_e32 v92, v54
	v_sub_u32_sdwa v54, v10, v29 dst_sel:DWORD dst_unused:UNUSED_PAD src0_sel:BYTE_2 src1_sel:DWORD
	v_cvt_f32_i32_e32 v54, v54
	v_cvt_f16_f32_e32 v40, v40
	v_cvt_f32_i32_e32 v43, v43
	v_sub_u32_sdwa v44, v8, v31 dst_sel:DWORD dst_unused:UNUSED_PAD src0_sel:BYTE_1 src1_sel:DWORD
	v_cvt_f16_f32_e32 v93, v54
	v_sub_u32_sdwa v54, v15, v28 dst_sel:DWORD dst_unused:UNUSED_PAD src0_sel:BYTE_0 src1_sel:DWORD
	v_cvt_f32_i32_e32 v54, v54
	v_cvt_f16_f32_e32 v41, v41
	v_cvt_f32_i32_e32 v44, v44
	v_sub_u32_sdwa v45, v8, v31 dst_sel:DWORD dst_unused:UNUSED_PAD src0_sel:BYTE_2 src1_sel:DWORD
	v_cvt_f16_f32_e32 v94, v54
	v_sub_u32_sdwa v54, v15, v28 dst_sel:DWORD dst_unused:UNUSED_PAD src0_sel:BYTE_1 src1_sel:DWORD
	v_cvt_f32_i32_e32 v54, v54
	v_cvt_f16_f32_e32 v42, v42
	v_cvt_f32_i32_e32 v45, v45
	v_sub_u32_sdwa v8, v8, v31 dst_sel:DWORD dst_unused:UNUSED_PAD src0_sel:BYTE_3 src1_sel:DWORD
	v_cvt_f16_f32_e32 v95, v54
	v_sub_u32_sdwa v54, v15, v28 dst_sel:DWORD dst_unused:UNUSED_PAD src0_sel:BYTE_2 src1_sel:DWORD
	v_cvt_f32_i32_e32 v54, v54
	v_cvt_f16_f32_e32 v12, v12
	v_cvt_f32_i32_e32 v8, v8
	v_cvt_f16_f32_e32 v43, v43
	v_cvt_f16_f32_e32 v96, v54
	v_sub_u32_sdwa v54, v11, v28 dst_sel:DWORD dst_unused:UNUSED_PAD src0_sel:BYTE_0 src1_sel:DWORD
	v_cvt_f32_i32_e32 v54, v54
	v_sub_u32_sdwa v46, v13, v30 dst_sel:DWORD dst_unused:UNUSED_PAD src0_sel:BYTE_0 src1_sel:DWORD
	v_cvt_f16_f32_e32 v44, v44
	v_cvt_f32_i32_e32 v46, v46
	v_cvt_f16_f32_e32 v97, v54
	v_sub_u32_sdwa v54, v11, v28 dst_sel:DWORD dst_unused:UNUSED_PAD src0_sel:BYTE_1 src1_sel:DWORD
	v_cvt_f32_i32_e32 v54, v54
	v_sub_u32_sdwa v47, v13, v30 dst_sel:DWORD dst_unused:UNUSED_PAD src0_sel:BYTE_1 src1_sel:DWORD
	v_cvt_f16_f32_e32 v45, v45
	v_cvt_f32_i32_e32 v47, v47
	v_cvt_f16_f32_e32 v98, v54
	v_sub_u32_sdwa v54, v11, v28 dst_sel:DWORD dst_unused:UNUSED_PAD src0_sel:BYTE_2 src1_sel:DWORD
	v_cvt_f32_i32_e32 v54, v54
	v_sub_u32_sdwa v48, v13, v30 dst_sel:DWORD dst_unused:UNUSED_PAD src0_sel:BYTE_2 src1_sel:DWORD
	v_cvt_f16_f32_e32 v8, v8
	v_cvt_f32_i32_e32 v48, v48
	v_cvt_f16_f32_e32 v99, v54
	v_fma_mix_f32 v54, v40, v4, 0 op_sel_hi:[1,1,0]
	v_sub_u32_sdwa v13, v13, v30 dst_sel:DWORD dst_unused:UNUSED_PAD src0_sel:BYTE_3 src1_sel:DWORD
	v_fma_mix_f32 v54, v41, v4, v54 op_sel:[0,1,0] op_sel_hi:[1,1,0]
	v_cvt_f32_i32_e32 v13, v13
	v_fma_mix_f32 v54, v42, v5, v54 op_sel_hi:[1,1,0]
	v_sub_u32_sdwa v49, v9, v30 dst_sel:DWORD dst_unused:UNUSED_PAD src0_sel:BYTE_0 src1_sel:DWORD
	v_fma_mix_f32 v54, v12, v5, v54 op_sel:[0,1,0] op_sel_hi:[1,1,0]
	v_cvt_f16_f32_e32 v46, v46
	v_fma_mix_f32 v54, v43, v6, v54 op_sel_hi:[1,1,0]
	v_cvt_f32_i32_e32 v49, v49
	v_sub_u32_sdwa v50, v9, v30 dst_sel:DWORD dst_unused:UNUSED_PAD src0_sel:BYTE_1 src1_sel:DWORD
	v_fma_mix_f32 v54, v44, v6, v54 op_sel:[0,1,0] op_sel_hi:[1,1,0]
	v_cvt_f16_f32_e32 v47, v47
	v_cvt_f32_i32_e32 v50, v50
	v_sub_u32_sdwa v51, v9, v30 dst_sel:DWORD dst_unused:UNUSED_PAD src0_sel:BYTE_2 src1_sel:DWORD
	v_fma_mix_f32 v54, v45, v7, v54 op_sel_hi:[1,1,0]
	v_cvt_f16_f32_e32 v48, v48
	v_cvt_f32_i32_e32 v51, v51
	v_sub_u32_sdwa v9, v9, v30 dst_sel:DWORD dst_unused:UNUSED_PAD src0_sel:BYTE_3 src1_sel:DWORD
	v_fma_mix_f32 v54, v8, v7, v54 op_sel:[0,1,0] op_sel_hi:[1,1,0]
	v_cvt_f16_f32_e32 v13, v13
	v_cvt_f32_i32_e32 v9, v9
	v_fma_mixlo_f16 v54, v54, v18, 0 op_sel_hi:[0,1,0]
	v_cvt_f16_f32_e32 v49, v49
	v_sub_u32_sdwa v52, v14, v29 dst_sel:DWORD dst_unused:UNUSED_PAD src0_sel:BYTE_0 src1_sel:DWORD
	v_add_f16_e32 v100, v35, v54
	v_fma_mix_f32 v35, v46, v4, 0 op_sel_hi:[1,1,0]
	v_cvt_f16_f32_e32 v50, v50
	v_cvt_f32_i32_e32 v52, v52
	v_sub_u32_sdwa v53, v14, v29 dst_sel:DWORD dst_unused:UNUSED_PAD src0_sel:BYTE_1 src1_sel:DWORD
	v_fma_mix_f32 v35, v47, v4, v35 op_sel:[0,1,0] op_sel_hi:[1,1,0]
	v_cvt_f16_f32_e32 v51, v51
	v_cvt_f32_i32_e32 v53, v53
	v_fma_mix_f32 v35, v48, v5, v35 op_sel_hi:[1,1,0]
	v_cvt_f16_f32_e32 v9, v9
	v_sub_u32_sdwa v14, v14, v29 dst_sel:DWORD dst_unused:UNUSED_PAD src0_sel:BYTE_3 src1_sel:DWORD
	v_fma_mix_f32 v35, v13, v5, v35 op_sel:[0,1,0] op_sel_hi:[1,1,0]
	v_cvt_f32_i32_e32 v14, v14
	v_fma_mix_f32 v35, v49, v6, v35 op_sel_hi:[1,1,0]
	v_cvt_f16_f32_e32 v52, v52
	v_fma_mix_f32 v35, v50, v6, v35 op_sel:[0,1,0] op_sel_hi:[1,1,0]
	v_cvt_f16_f32_e32 v53, v53
	v_fma_mix_f32 v35, v51, v7, v35 op_sel_hi:[1,1,0]
	v_sub_u32_sdwa v10, v10, v29 dst_sel:DWORD dst_unused:UNUSED_PAD src0_sel:BYTE_3 src1_sel:DWORD
	v_fma_mix_f32 v35, v9, v7, v35 op_sel:[0,1,0] op_sel_hi:[1,1,0]
	v_cvt_f16_f32_e32 v14, v14
	v_cvt_f32_i32_e32 v10, v10
	v_fma_mixlo_f16 v35, v35, v18, 0 op_sel:[0,1,0] op_sel_hi:[0,1,0]
	v_add_f16_e32 v101, v34, v35
	v_fma_mix_f32 v34, v52, v4, 0 op_sel_hi:[1,1,0]
	v_cvt_f16_f32_e32 v10, v10
	v_fma_mix_f32 v34, v53, v4, v34 op_sel:[0,1,0] op_sel_hi:[1,1,0]
	v_sub_u32_sdwa v15, v15, v28 dst_sel:DWORD dst_unused:UNUSED_PAD src0_sel:BYTE_3 src1_sel:DWORD
	v_fma_mix_f32 v34, v90, v5, v34 op_sel_hi:[1,1,0]
	v_cvt_f32_i32_e32 v15, v15
	v_fma_mix_f32 v34, v14, v5, v34 op_sel:[0,1,0] op_sel_hi:[1,1,0]
	v_sub_u32_sdwa v11, v11, v28 dst_sel:DWORD dst_unused:UNUSED_PAD src0_sel:BYTE_3 src1_sel:DWORD
	v_fma_mix_f32 v34, v91, v6, v34 op_sel_hi:[1,1,0]
	v_cvt_f16_f32_e32 v15, v15
	v_fma_mix_f32 v34, v92, v6, v34 op_sel:[0,1,0] op_sel_hi:[1,1,0]
	v_cvt_f32_i32_e32 v11, v11
	v_fma_mix_f32 v34, v93, v7, v34 op_sel_hi:[1,1,0]
	v_cvt_f16_f32_e32 v11, v11
	v_fma_mix_f32 v34, v10, v7, v34 op_sel:[0,1,0] op_sel_hi:[1,1,0]
	s_nop 0
	v_fma_mixlo_f16 v34, v34, v19, 0 op_sel_hi:[0,1,0]
	v_add_f16_e32 v102, v33, v34
	v_fma_mix_f32 v33, v94, v4, 0 op_sel_hi:[1,1,0]
	s_nop 0
	v_fma_mix_f32 v4, v95, v4, v33 op_sel:[0,1,0] op_sel_hi:[1,1,0]
	s_nop 0
	v_fma_mix_f32 v4, v96, v5, v4 op_sel_hi:[1,1,0]
	s_nop 0
	v_fma_mix_f32 v4, v15, v5, v4 op_sel:[0,1,0] op_sel_hi:[1,1,0]
	s_nop 0
	;; [unrolled: 4-line block ×4, first 2 shown]
	v_fma_mixlo_f16 v4, v4, v19, 0 op_sel:[0,1,0] op_sel_hi:[0,1,0]
	v_add_f16_e32 v103, v32, v4
	ds_read_b128 v[4:7], v27 offset:288
	s_waitcnt lgkmcnt(0)
	v_fma_mix_f32 v32, v40, v4, 0 op_sel_hi:[1,1,0]
	s_nop 0
	v_fma_mix_f32 v32, v41, v4, v32 op_sel:[0,1,0] op_sel_hi:[1,1,0]
	s_nop 0
	v_fma_mix_f32 v32, v42, v5, v32 op_sel_hi:[1,1,0]
	s_nop 0
	v_fma_mix_f32 v32, v12, v5, v32 op_sel:[0,1,0] op_sel_hi:[1,1,0]
	s_nop 0
	;; [unrolled: 4-line block ×4, first 2 shown]
	v_fma_mixlo_f16 v32, v32, v18, 0 op_sel_hi:[0,1,0]
	v_add_f16_e32 v55, v68, v32
	v_fma_mix_f32 v32, v46, v4, 0 op_sel_hi:[1,1,0]
	s_nop 0
	v_fma_mix_f32 v32, v47, v4, v32 op_sel:[0,1,0] op_sel_hi:[1,1,0]
	s_nop 0
	v_fma_mix_f32 v32, v48, v5, v32 op_sel_hi:[1,1,0]
	s_nop 0
	v_fma_mix_f32 v32, v13, v5, v32 op_sel:[0,1,0] op_sel_hi:[1,1,0]
	s_nop 0
	;; [unrolled: 4-line block ×4, first 2 shown]
	v_fma_mixlo_f16 v32, v32, v18, 0 op_sel:[0,1,0] op_sel_hi:[0,1,0]
	v_add_f16_e32 v89, v69, v32
	v_fma_mix_f32 v32, v52, v4, 0 op_sel_hi:[1,1,0]
	s_nop 0
	v_fma_mix_f32 v32, v53, v4, v32 op_sel:[0,1,0] op_sel_hi:[1,1,0]
	s_nop 0
	v_fma_mix_f32 v32, v90, v5, v32 op_sel_hi:[1,1,0]
	s_nop 0
	v_fma_mix_f32 v32, v14, v5, v32 op_sel:[0,1,0] op_sel_hi:[1,1,0]
	s_nop 0
	;; [unrolled: 4-line block ×4, first 2 shown]
	v_fma_mixlo_f16 v32, v32, v19, 0 op_sel_hi:[0,1,0]
	v_add_f16_e32 v54, v70, v32
	v_fma_mix_f32 v32, v94, v4, 0 op_sel_hi:[1,1,0]
	s_nop 0
	v_fma_mix_f32 v4, v95, v4, v32 op_sel:[0,1,0] op_sel_hi:[1,1,0]
	s_nop 0
	v_fma_mix_f32 v4, v96, v5, v4 op_sel_hi:[1,1,0]
	s_nop 0
	v_fma_mix_f32 v4, v15, v5, v4 op_sel:[0,1,0] op_sel_hi:[1,1,0]
	s_nop 0
	;; [unrolled: 4-line block ×4, first 2 shown]
	v_fma_mixlo_f16 v4, v4, v19, 0 op_sel:[0,1,0] op_sel_hi:[0,1,0]
	v_add_f16_e32 v88, v71, v4
	ds_read_b128 v[4:7], v27 offset:544
	s_waitcnt lgkmcnt(0)
	v_fma_mix_f32 v32, v40, v4, 0 op_sel_hi:[1,1,0]
	s_nop 0
	v_fma_mix_f32 v32, v41, v4, v32 op_sel:[0,1,0] op_sel_hi:[1,1,0]
	s_nop 0
	v_fma_mix_f32 v32, v42, v5, v32 op_sel_hi:[1,1,0]
	s_nop 0
	v_fma_mix_f32 v32, v12, v5, v32 op_sel:[0,1,0] op_sel_hi:[1,1,0]
	s_nop 0
	;; [unrolled: 4-line block ×4, first 2 shown]
	v_fma_mixlo_f16 v32, v32, v18, 0 op_sel_hi:[0,1,0]
	v_add_f16_e32 v57, v72, v32
	v_fma_mix_f32 v32, v46, v4, 0 op_sel_hi:[1,1,0]
	s_nop 0
	v_fma_mix_f32 v32, v47, v4, v32 op_sel:[0,1,0] op_sel_hi:[1,1,0]
	s_nop 0
	v_fma_mix_f32 v32, v48, v5, v32 op_sel_hi:[1,1,0]
	s_nop 0
	v_fma_mix_f32 v32, v13, v5, v32 op_sel:[0,1,0] op_sel_hi:[1,1,0]
	s_nop 0
	;; [unrolled: 4-line block ×4, first 2 shown]
	v_fma_mixlo_f16 v32, v32, v18, 0 op_sel:[0,1,0] op_sel_hi:[0,1,0]
	v_add_f16_e32 v71, v73, v32
	v_fma_mix_f32 v32, v52, v4, 0 op_sel_hi:[1,1,0]
	s_nop 0
	v_fma_mix_f32 v32, v53, v4, v32 op_sel:[0,1,0] op_sel_hi:[1,1,0]
	s_nop 0
	v_fma_mix_f32 v32, v90, v5, v32 op_sel_hi:[1,1,0]
	s_nop 0
	v_fma_mix_f32 v32, v14, v5, v32 op_sel:[0,1,0] op_sel_hi:[1,1,0]
	s_nop 0
	v_fma_mix_f32 v32, v91, v6, v32 op_sel_hi:[1,1,0]
	s_nop 0
	v_fma_mix_f32 v32, v92, v6, v32 op_sel:[0,1,0] op_sel_hi:[1,1,0]
	s_nop 0
	v_fma_mix_f32 v32, v93, v7, v32 op_sel_hi:[1,1,0]
	s_nop 0
	v_fma_mix_f32 v32, v10, v7, v32 op_sel:[0,1,0] op_sel_hi:[1,1,0]
	s_nop 0
	v_fma_mixlo_f16 v32, v32, v19, 0 op_sel_hi:[0,1,0]
	v_add_f16_e32 v56, v74, v32
	v_fma_mix_f32 v32, v94, v4, 0 op_sel_hi:[1,1,0]
	s_nop 0
	v_fma_mix_f32 v4, v95, v4, v32 op_sel:[0,1,0] op_sel_hi:[1,1,0]
	s_nop 0
	v_fma_mix_f32 v4, v96, v5, v4 op_sel_hi:[1,1,0]
	s_nop 0
	v_fma_mix_f32 v4, v15, v5, v4 op_sel:[0,1,0] op_sel_hi:[1,1,0]
	s_nop 0
	;; [unrolled: 4-line block ×4, first 2 shown]
	v_fma_mixlo_f16 v4, v4, v19, 0 op_sel:[0,1,0] op_sel_hi:[0,1,0]
	v_add_f16_e32 v70, v75, v4
	ds_read_b128 v[4:7], v27 offset:800
	s_waitcnt lgkmcnt(0)
	v_fma_mix_f32 v32, v40, v4, 0 op_sel_hi:[1,1,0]
	s_nop 0
	v_fma_mix_f32 v32, v41, v4, v32 op_sel:[0,1,0] op_sel_hi:[1,1,0]
	s_nop 0
	v_fma_mix_f32 v32, v42, v5, v32 op_sel_hi:[1,1,0]
	s_nop 0
	v_fma_mix_f32 v32, v12, v5, v32 op_sel:[0,1,0] op_sel_hi:[1,1,0]
	s_nop 0
	;; [unrolled: 4-line block ×4, first 2 shown]
	v_fma_mixlo_f16 v32, v32, v18, 0 op_sel_hi:[0,1,0]
	v_add_f16_e32 v59, v76, v32
	v_fma_mix_f32 v32, v46, v4, 0 op_sel_hi:[1,1,0]
	s_nop 0
	v_fma_mix_f32 v32, v47, v4, v32 op_sel:[0,1,0] op_sel_hi:[1,1,0]
	s_nop 0
	v_fma_mix_f32 v32, v48, v5, v32 op_sel_hi:[1,1,0]
	s_nop 0
	v_fma_mix_f32 v32, v13, v5, v32 op_sel:[0,1,0] op_sel_hi:[1,1,0]
	s_nop 0
	;; [unrolled: 4-line block ×4, first 2 shown]
	v_fma_mixlo_f16 v32, v32, v18, 0 op_sel:[0,1,0] op_sel_hi:[0,1,0]
	v_add_f16_e32 v69, v77, v32
	v_fma_mix_f32 v32, v52, v4, 0 op_sel_hi:[1,1,0]
	s_nop 0
	v_fma_mix_f32 v32, v53, v4, v32 op_sel:[0,1,0] op_sel_hi:[1,1,0]
	s_nop 0
	v_fma_mix_f32 v32, v90, v5, v32 op_sel_hi:[1,1,0]
	s_nop 0
	v_fma_mix_f32 v32, v14, v5, v32 op_sel:[0,1,0] op_sel_hi:[1,1,0]
	s_nop 0
	;; [unrolled: 4-line block ×4, first 2 shown]
	v_fma_mixlo_f16 v32, v32, v19, 0 op_sel_hi:[0,1,0]
	v_add_f16_e32 v58, v78, v32
	v_fma_mix_f32 v32, v94, v4, 0 op_sel_hi:[1,1,0]
	s_nop 0
	v_fma_mix_f32 v4, v95, v4, v32 op_sel:[0,1,0] op_sel_hi:[1,1,0]
	s_nop 0
	v_fma_mix_f32 v4, v96, v5, v4 op_sel_hi:[1,1,0]
	s_nop 0
	v_fma_mix_f32 v4, v15, v5, v4 op_sel:[0,1,0] op_sel_hi:[1,1,0]
	s_nop 0
	;; [unrolled: 4-line block ×4, first 2 shown]
	v_fma_mixlo_f16 v4, v4, v19, 0 op_sel:[0,1,0] op_sel_hi:[0,1,0]
	v_add_f16_e32 v68, v79, v4
	ds_read_b128 v[4:7], v27 offset:1056
	s_waitcnt lgkmcnt(0)
	v_fma_mix_f32 v32, v40, v4, 0 op_sel_hi:[1,1,0]
	s_nop 0
	v_fma_mix_f32 v32, v41, v4, v32 op_sel:[0,1,0] op_sel_hi:[1,1,0]
	s_nop 0
	v_fma_mix_f32 v32, v42, v5, v32 op_sel_hi:[1,1,0]
	s_nop 0
	v_fma_mix_f32 v32, v12, v5, v32 op_sel:[0,1,0] op_sel_hi:[1,1,0]
	s_nop 0
	;; [unrolled: 4-line block ×4, first 2 shown]
	v_fma_mixlo_f16 v32, v32, v18, 0 op_sel_hi:[0,1,0]
	v_add_f16_e32 v61, v84, v32
	v_fma_mix_f32 v32, v46, v4, 0 op_sel_hi:[1,1,0]
	s_nop 0
	v_fma_mix_f32 v32, v47, v4, v32 op_sel:[0,1,0] op_sel_hi:[1,1,0]
	s_nop 0
	v_fma_mix_f32 v32, v48, v5, v32 op_sel_hi:[1,1,0]
	s_nop 0
	v_fma_mix_f32 v32, v13, v5, v32 op_sel:[0,1,0] op_sel_hi:[1,1,0]
	s_nop 0
	;; [unrolled: 4-line block ×4, first 2 shown]
	v_fma_mixlo_f16 v32, v32, v18, 0 op_sel:[0,1,0] op_sel_hi:[0,1,0]
	v_add_f16_e32 v67, v85, v32
	v_fma_mix_f32 v32, v52, v4, 0 op_sel_hi:[1,1,0]
	s_nop 0
	v_fma_mix_f32 v32, v53, v4, v32 op_sel:[0,1,0] op_sel_hi:[1,1,0]
	s_nop 0
	v_fma_mix_f32 v32, v90, v5, v32 op_sel_hi:[1,1,0]
	s_nop 0
	v_fma_mix_f32 v32, v14, v5, v32 op_sel:[0,1,0] op_sel_hi:[1,1,0]
	s_nop 0
	;; [unrolled: 4-line block ×4, first 2 shown]
	v_fma_mixlo_f16 v32, v32, v19, 0 op_sel_hi:[0,1,0]
	v_add_f16_e32 v60, v86, v32
	v_fma_mix_f32 v32, v94, v4, 0 op_sel_hi:[1,1,0]
	s_nop 0
	v_fma_mix_f32 v4, v95, v4, v32 op_sel:[0,1,0] op_sel_hi:[1,1,0]
	s_nop 0
	v_fma_mix_f32 v4, v96, v5, v4 op_sel_hi:[1,1,0]
	s_nop 0
	v_fma_mix_f32 v4, v15, v5, v4 op_sel:[0,1,0] op_sel_hi:[1,1,0]
	s_nop 0
	;; [unrolled: 4-line block ×4, first 2 shown]
	v_fma_mixlo_f16 v4, v4, v19, 0 op_sel:[0,1,0] op_sel_hi:[0,1,0]
	v_add_f16_e32 v66, v87, v4
	ds_read_b128 v[4:7], v27 offset:1312
	s_waitcnt lgkmcnt(0)
	v_fma_mix_f32 v32, v40, v4, 0 op_sel_hi:[1,1,0]
	s_nop 0
	v_fma_mix_f32 v32, v41, v4, v32 op_sel:[0,1,0] op_sel_hi:[1,1,0]
	s_nop 0
	v_fma_mix_f32 v32, v42, v5, v32 op_sel_hi:[1,1,0]
	s_nop 0
	v_fma_mix_f32 v32, v12, v5, v32 op_sel:[0,1,0] op_sel_hi:[1,1,0]
	s_nop 0
	;; [unrolled: 4-line block ×4, first 2 shown]
	v_fma_mixlo_f16 v32, v32, v18, 0 op_sel_hi:[0,1,0]
	v_add_f16_e32 v63, v80, v32
	v_fma_mix_f32 v32, v46, v4, 0 op_sel_hi:[1,1,0]
	s_nop 0
	v_fma_mix_f32 v32, v47, v4, v32 op_sel:[0,1,0] op_sel_hi:[1,1,0]
	s_nop 0
	v_fma_mix_f32 v32, v48, v5, v32 op_sel_hi:[1,1,0]
	s_nop 0
	v_fma_mix_f32 v32, v13, v5, v32 op_sel:[0,1,0] op_sel_hi:[1,1,0]
	s_nop 0
	v_fma_mix_f32 v32, v49, v6, v32 op_sel_hi:[1,1,0]
	s_nop 0
	v_fma_mix_f32 v32, v50, v6, v32 op_sel:[0,1,0] op_sel_hi:[1,1,0]
	s_nop 0
	v_fma_mix_f32 v32, v51, v7, v32 op_sel_hi:[1,1,0]
	s_nop 0
	v_fma_mix_f32 v32, v9, v7, v32 op_sel:[0,1,0] op_sel_hi:[1,1,0]
	s_nop 0
	v_fma_mixlo_f16 v32, v32, v18, 0 op_sel:[0,1,0] op_sel_hi:[0,1,0]
	v_add_f16_e32 v65, v81, v32
	v_fma_mix_f32 v32, v52, v4, 0 op_sel_hi:[1,1,0]
	s_nop 0
	v_fma_mix_f32 v32, v53, v4, v32 op_sel:[0,1,0] op_sel_hi:[1,1,0]
	s_nop 0
	v_fma_mix_f32 v32, v90, v5, v32 op_sel_hi:[1,1,0]
	s_nop 0
	v_fma_mix_f32 v32, v14, v5, v32 op_sel:[0,1,0] op_sel_hi:[1,1,0]
	s_nop 0
	;; [unrolled: 4-line block ×4, first 2 shown]
	v_fma_mixlo_f16 v32, v32, v19, 0 op_sel_hi:[0,1,0]
	v_add_f16_e32 v62, v82, v32
	v_fma_mix_f32 v32, v94, v4, 0 op_sel_hi:[1,1,0]
	s_nop 0
	v_fma_mix_f32 v4, v95, v4, v32 op_sel:[0,1,0] op_sel_hi:[1,1,0]
	ds_read_b128 v[32:35], v27 offset:1568
	v_fma_mix_f32 v4, v96, v5, v4 op_sel_hi:[1,1,0]
	s_nop 0
	v_fma_mix_f32 v4, v15, v5, v4 op_sel:[0,1,0] op_sel_hi:[1,1,0]
	s_nop 0
	v_fma_mix_f32 v4, v97, v6, v4 op_sel_hi:[1,1,0]
	s_nop 0
	v_fma_mix_f32 v4, v98, v6, v4 op_sel:[0,1,0] op_sel_hi:[1,1,0]
	s_nop 0
	;; [unrolled: 4-line block ×3, first 2 shown]
	v_fma_mixlo_f16 v4, v4, v19, 0 op_sel:[0,1,0] op_sel_hi:[0,1,0]
	v_add_f16_e32 v64, v83, v4
	s_waitcnt lgkmcnt(0)
	v_fma_mix_f32 v4, v40, v32, 0 op_sel_hi:[1,1,0]
	s_nop 0
	v_fma_mix_f32 v4, v41, v32, v4 op_sel:[0,1,0] op_sel_hi:[1,1,0]
	s_nop 0
	v_fma_mix_f32 v4, v42, v33, v4 op_sel_hi:[1,1,0]
	s_nop 0
	v_fma_mix_f32 v4, v12, v33, v4 op_sel:[0,1,0] op_sel_hi:[1,1,0]
	s_nop 0
	;; [unrolled: 4-line block ×4, first 2 shown]
	v_fma_mixlo_f16 v4, v4, v18, 0 op_sel_hi:[0,1,0]
	v_add_f16_e32 v8, v36, v4
	v_fma_mix_f32 v4, v46, v32, 0 op_sel_hi:[1,1,0]
	s_nop 0
	v_fma_mix_f32 v4, v47, v32, v4 op_sel:[0,1,0] op_sel_hi:[1,1,0]
	s_nop 0
	v_fma_mix_f32 v4, v48, v33, v4 op_sel_hi:[1,1,0]
	s_nop 0
	v_fma_mix_f32 v4, v13, v33, v4 op_sel:[0,1,0] op_sel_hi:[1,1,0]
	s_nop 0
	;; [unrolled: 4-line block ×4, first 2 shown]
	v_fma_mixlo_f16 v4, v4, v18, 0 op_sel:[0,1,0] op_sel_hi:[0,1,0]
	v_add_f16_e32 v9, v37, v4
	v_fma_mix_f32 v4, v52, v32, 0 op_sel_hi:[1,1,0]
	s_nop 0
	v_fma_mix_f32 v4, v53, v32, v4 op_sel:[0,1,0] op_sel_hi:[1,1,0]
	s_nop 0
	v_fma_mix_f32 v4, v90, v33, v4 op_sel_hi:[1,1,0]
	s_nop 0
	v_fma_mix_f32 v4, v14, v33, v4 op_sel:[0,1,0] op_sel_hi:[1,1,0]
	s_nop 0
	;; [unrolled: 4-line block ×4, first 2 shown]
	v_fma_mixlo_f16 v4, v4, v19, 0 op_sel_hi:[0,1,0]
	v_add_f16_e32 v6, v38, v4
	v_fma_mix_f32 v4, v94, v32, 0 op_sel_hi:[1,1,0]
	s_nop 0
	v_fma_mix_f32 v4, v95, v32, v4 op_sel:[0,1,0] op_sel_hi:[1,1,0]
	s_nop 0
	v_fma_mix_f32 v4, v96, v33, v4 op_sel_hi:[1,1,0]
	s_nop 0
	v_fma_mix_f32 v4, v15, v33, v4 op_sel:[0,1,0] op_sel_hi:[1,1,0]
	s_nop 0
	;; [unrolled: 4-line block ×4, first 2 shown]
	v_fma_mixlo_f16 v4, v4, v19, 0 op_sel:[0,1,0] op_sel_hi:[0,1,0]
	v_add_f16_e32 v7, v39, v4
	v_lshl_add_u64 v[4:5], v[20:21], 0, s[0:1]
	global_load_dwordx4 v[48:51], v[4:5], off
	v_lshl_add_u64 v[4:5], v[4:5], 0, s[0:1]
	global_load_dwordx4 v[72:75], v[4:5], off
	s_waitcnt vmcnt(1)
	v_sub_u32_sdwa v10, v48, v31 dst_sel:DWORD dst_unused:UNUSED_PAD src0_sel:BYTE_0 src1_sel:DWORD
	v_sub_u32_sdwa v11, v48, v31 dst_sel:DWORD dst_unused:UNUSED_PAD src0_sel:BYTE_1 src1_sel:DWORD
	s_waitcnt vmcnt(0)
	v_sub_u32_sdwa v14, v72, v31 dst_sel:DWORD dst_unused:UNUSED_PAD src0_sel:BYTE_0 src1_sel:DWORD
	v_cvt_f32_i32_e32 v14, v14
	v_sub_u32_sdwa v12, v48, v31 dst_sel:DWORD dst_unused:UNUSED_PAD src0_sel:BYTE_2 src1_sel:DWORD
	v_sub_u32_sdwa v13, v48, v31 dst_sel:DWORD dst_unused:UNUSED_PAD src0_sel:BYTE_3 src1_sel:DWORD
	v_cvt_f32_i32_e32 v10, v10
	v_cvt_f16_f32_e32 v20, v14
	v_sub_u32_sdwa v14, v72, v31 dst_sel:DWORD dst_unused:UNUSED_PAD src0_sel:BYTE_1 src1_sel:DWORD
	v_cvt_f32_i32_e32 v14, v14
	v_cvt_f32_i32_e32 v11, v11
	;; [unrolled: 1-line block ×4, first 2 shown]
	v_cvt_f16_f32_e32 v21, v14
	v_sub_u32_sdwa v14, v72, v31 dst_sel:DWORD dst_unused:UNUSED_PAD src0_sel:BYTE_2 src1_sel:DWORD
	v_cvt_f32_i32_e32 v14, v14
	v_cvt_f16_f32_e32 v10, v10
	v_cvt_f16_f32_e32 v11, v11
	;; [unrolled: 1-line block ×4, first 2 shown]
	v_sub_u32_sdwa v14, v72, v31 dst_sel:DWORD dst_unused:UNUSED_PAD src0_sel:BYTE_3 src1_sel:DWORD
	v_cvt_f32_i32_e32 v14, v14
	v_cvt_f16_f32_e32 v13, v13
	v_cvt_f16_f32_e32 v31, v14
	v_sub_u32_sdwa v14, v49, v30 dst_sel:DWORD dst_unused:UNUSED_PAD src0_sel:BYTE_0 src1_sel:DWORD
	v_cvt_f32_i32_e32 v14, v14
	v_cvt_f16_f32_e32 v33, v14
	v_sub_u32_sdwa v14, v49, v30 dst_sel:DWORD dst_unused:UNUSED_PAD src0_sel:BYTE_1 src1_sel:DWORD
	v_cvt_f32_i32_e32 v14, v14
	v_fma_mix_f32 v15, v33, v0, 0 op_sel_hi:[1,1,0]
	v_cvt_f16_f32_e32 v34, v14
	v_sub_u32_sdwa v14, v49, v30 dst_sel:DWORD dst_unused:UNUSED_PAD src0_sel:BYTE_2 src1_sel:DWORD
	v_cvt_f32_i32_e32 v14, v14
	v_fma_mix_f32 v15, v34, v0, v15 op_sel:[0,1,0] op_sel_hi:[1,1,0]
	v_cvt_f16_f32_e32 v35, v14
	v_sub_u32_sdwa v14, v49, v30 dst_sel:DWORD dst_unused:UNUSED_PAD src0_sel:BYTE_3 src1_sel:DWORD
	v_cvt_f32_i32_e32 v14, v14
	v_fma_mix_f32 v15, v35, v1, v15 op_sel_hi:[1,1,0]
	v_cvt_f16_f32_e32 v36, v14
	v_sub_u32_sdwa v14, v73, v30 dst_sel:DWORD dst_unused:UNUSED_PAD src0_sel:BYTE_0 src1_sel:DWORD
	v_cvt_f32_i32_e32 v14, v14
	v_fma_mix_f32 v15, v36, v1, v15 op_sel:[0,1,0] op_sel_hi:[1,1,0]
	v_cvt_f16_f32_e32 v37, v14
	v_sub_u32_sdwa v14, v73, v30 dst_sel:DWORD dst_unused:UNUSED_PAD src0_sel:BYTE_1 src1_sel:DWORD
	v_cvt_f32_i32_e32 v14, v14
	v_fma_mix_f32 v15, v37, v2, v15 op_sel_hi:[1,1,0]
	v_cvt_f16_f32_e32 v38, v14
	v_sub_u32_sdwa v14, v73, v30 dst_sel:DWORD dst_unused:UNUSED_PAD src0_sel:BYTE_2 src1_sel:DWORD
	v_cvt_f32_i32_e32 v14, v14
	v_fma_mix_f32 v15, v38, v2, v15 op_sel:[0,1,0] op_sel_hi:[1,1,0]
	v_cvt_f16_f32_e32 v39, v14
	v_sub_u32_sdwa v14, v73, v30 dst_sel:DWORD dst_unused:UNUSED_PAD src0_sel:BYTE_3 src1_sel:DWORD
	v_cvt_f32_i32_e32 v14, v14
	v_fma_mix_f32 v15, v39, v3, v15 op_sel_hi:[1,1,0]
	v_cvt_f16_f32_e32 v40, v14
	v_sub_u32_sdwa v14, v50, v29 dst_sel:DWORD dst_unused:UNUSED_PAD src0_sel:BYTE_0 src1_sel:DWORD
	v_cvt_f32_i32_e32 v14, v14
	v_fma_mix_f32 v15, v40, v3, v15 op_sel:[0,1,0] op_sel_hi:[1,1,0]
	s_nop 0
	v_fma_mixlo_f16 v15, v15, v18, 0 op_sel:[0,1,0] op_sel_hi:[0,1,0]
	v_cvt_f16_f32_e32 v30, v14
	v_sub_u32_sdwa v14, v50, v29 dst_sel:DWORD dst_unused:UNUSED_PAD src0_sel:BYTE_1 src1_sel:DWORD
	v_cvt_f32_i32_e32 v14, v14
	v_add_f16_e32 v15, v101, v15
	v_cvt_f16_f32_e32 v41, v14
	v_sub_u32_sdwa v14, v50, v29 dst_sel:DWORD dst_unused:UNUSED_PAD src0_sel:BYTE_2 src1_sel:DWORD
	v_cvt_f32_i32_e32 v14, v14
	v_cvt_f16_f32_e32 v42, v14
	v_sub_u32_sdwa v14, v50, v29 dst_sel:DWORD dst_unused:UNUSED_PAD src0_sel:BYTE_3 src1_sel:DWORD
	v_cvt_f32_i32_e32 v14, v14
	v_cvt_f16_f32_e32 v43, v14
	v_sub_u32_sdwa v14, v74, v29 dst_sel:DWORD dst_unused:UNUSED_PAD src0_sel:BYTE_0 src1_sel:DWORD
	v_cvt_f32_i32_e32 v14, v14
	v_cvt_f16_f32_e32 v44, v14
	v_sub_u32_sdwa v14, v74, v29 dst_sel:DWORD dst_unused:UNUSED_PAD src0_sel:BYTE_1 src1_sel:DWORD
	v_cvt_f32_i32_e32 v14, v14
	v_cvt_f16_f32_e32 v45, v14
	v_sub_u32_sdwa v14, v74, v29 dst_sel:DWORD dst_unused:UNUSED_PAD src0_sel:BYTE_2 src1_sel:DWORD
	v_cvt_f32_i32_e32 v14, v14
	v_cvt_f16_f32_e32 v46, v14
	v_sub_u32_sdwa v14, v74, v29 dst_sel:DWORD dst_unused:UNUSED_PAD src0_sel:BYTE_3 src1_sel:DWORD
	v_cvt_f32_i32_e32 v14, v14
	v_cvt_f16_f32_e32 v29, v14
	v_sub_u32_sdwa v14, v51, v28 dst_sel:DWORD dst_unused:UNUSED_PAD src0_sel:BYTE_0 src1_sel:DWORD
	v_cvt_f32_i32_e32 v14, v14
	v_cvt_f16_f32_e32 v47, v14
	v_sub_u32_sdwa v14, v51, v28 dst_sel:DWORD dst_unused:UNUSED_PAD src0_sel:BYTE_1 src1_sel:DWORD
	v_cvt_f32_i32_e32 v14, v14
	v_fma_mix_f32 v72, v47, v0, 0 op_sel_hi:[1,1,0]
	v_cvt_f16_f32_e32 v48, v14
	v_sub_u32_sdwa v14, v51, v28 dst_sel:DWORD dst_unused:UNUSED_PAD src0_sel:BYTE_2 src1_sel:DWORD
	v_cvt_f32_i32_e32 v14, v14
	v_cvt_f16_f32_e32 v49, v14
	v_sub_u32_sdwa v14, v51, v28 dst_sel:DWORD dst_unused:UNUSED_PAD src0_sel:BYTE_3 src1_sel:DWORD
	v_cvt_f32_i32_e32 v14, v14
	v_cvt_f16_f32_e32 v50, v14
	v_sub_u32_sdwa v14, v75, v28 dst_sel:DWORD dst_unused:UNUSED_PAD src0_sel:BYTE_0 src1_sel:DWORD
	v_cvt_f32_i32_e32 v14, v14
	v_cvt_f16_f32_e32 v51, v14
	v_sub_u32_sdwa v14, v75, v28 dst_sel:DWORD dst_unused:UNUSED_PAD src0_sel:BYTE_1 src1_sel:DWORD
	v_cvt_f32_i32_e32 v14, v14
	v_cvt_f16_f32_e32 v52, v14
	v_sub_u32_sdwa v14, v75, v28 dst_sel:DWORD dst_unused:UNUSED_PAD src0_sel:BYTE_2 src1_sel:DWORD
	v_cvt_f32_i32_e32 v14, v14
	v_cvt_f16_f32_e32 v53, v14
	v_sub_u32_sdwa v14, v75, v28 dst_sel:DWORD dst_unused:UNUSED_PAD src0_sel:BYTE_3 src1_sel:DWORD
	v_cvt_f32_i32_e32 v14, v14
	v_cvt_f16_f32_e32 v28, v14
	v_fma_mix_f32 v14, v10, v0, 0 op_sel_hi:[1,1,0]
	s_nop 0
	v_fma_mix_f32 v14, v11, v0, v14 op_sel:[0,1,0] op_sel_hi:[1,1,0]
	s_nop 0
	v_fma_mix_f32 v14, v12, v1, v14 op_sel_hi:[1,1,0]
	s_nop 0
	v_fma_mix_f32 v14, v13, v1, v14 op_sel:[0,1,0] op_sel_hi:[1,1,0]
	s_nop 0
	;; [unrolled: 4-line block ×4, first 2 shown]
	v_fma_mixlo_f16 v14, v14, v18, 0 op_sel_hi:[0,1,0]
	v_add_f16_e32 v14, v100, v14
	v_pack_b32_f16 v15, v14, v15
	v_fma_mix_f32 v14, v30, v0, 0 op_sel_hi:[1,1,0]
	s_nop 0
	v_fma_mix_f32 v14, v41, v0, v14 op_sel:[0,1,0] op_sel_hi:[1,1,0]
	v_fma_mix_f32 v0, v48, v0, v72 op_sel:[0,1,0] op_sel_hi:[1,1,0]
	v_fma_mix_f32 v14, v42, v1, v14 op_sel_hi:[1,1,0]
	v_fma_mix_f32 v0, v49, v1, v0 op_sel_hi:[1,1,0]
	v_fma_mix_f32 v14, v43, v1, v14 op_sel:[0,1,0] op_sel_hi:[1,1,0]
	v_fma_mix_f32 v0, v50, v1, v0 op_sel:[0,1,0] op_sel_hi:[1,1,0]
	v_fma_mix_f32 v14, v44, v2, v14 op_sel_hi:[1,1,0]
	v_fma_mix_f32 v0, v51, v2, v0 op_sel_hi:[1,1,0]
	;; [unrolled: 4-line block ×3, first 2 shown]
	v_fma_mix_f32 v14, v29, v3, v14 op_sel:[0,1,0] op_sel_hi:[1,1,0]
	v_fma_mix_f32 v0, v28, v3, v0 op_sel:[0,1,0] op_sel_hi:[1,1,0]
	v_fma_mixlo_f16 v14, v14, v19, 0 op_sel_hi:[0,1,0]
	v_fma_mixlo_f16 v0, v0, v19, 0 op_sel:[0,1,0] op_sel_hi:[0,1,0]
	v_add_f16_e32 v14, v102, v14
	v_add_f16_e32 v0, v103, v0
	v_pack_b32_f16 v14, v14, v0
	ds_read_b128 v[0:3], v27 offset:304
	s_waitcnt lgkmcnt(0)
	v_fma_mix_f32 v72, v10, v0, 0 op_sel_hi:[1,1,0]
	s_nop 0
	v_fma_mix_f32 v72, v11, v0, v72 op_sel:[0,1,0] op_sel_hi:[1,1,0]
	s_nop 0
	v_fma_mix_f32 v72, v12, v1, v72 op_sel_hi:[1,1,0]
	s_nop 0
	v_fma_mix_f32 v72, v13, v1, v72 op_sel:[0,1,0] op_sel_hi:[1,1,0]
	s_nop 0
	;; [unrolled: 4-line block ×4, first 2 shown]
	v_fma_mixlo_f16 v72, v72, v18, 0 op_sel_hi:[0,1,0]
	v_add_f16_e32 v55, v55, v72
	v_fma_mix_f32 v72, v33, v0, 0 op_sel_hi:[1,1,0]
	s_nop 0
	v_fma_mix_f32 v72, v34, v0, v72 op_sel:[0,1,0] op_sel_hi:[1,1,0]
	s_nop 0
	v_fma_mix_f32 v72, v35, v1, v72 op_sel_hi:[1,1,0]
	s_nop 0
	v_fma_mix_f32 v72, v36, v1, v72 op_sel:[0,1,0] op_sel_hi:[1,1,0]
	s_nop 0
	;; [unrolled: 4-line block ×4, first 2 shown]
	v_fma_mixlo_f16 v72, v72, v18, 0 op_sel:[0,1,0] op_sel_hi:[0,1,0]
	v_add_f16_e32 v72, v89, v72
	v_pack_b32_f16 v55, v55, v72
	v_fma_mix_f32 v72, v30, v0, 0 op_sel_hi:[1,1,0]
	s_nop 0
	v_fma_mix_f32 v72, v41, v0, v72 op_sel:[0,1,0] op_sel_hi:[1,1,0]
	s_nop 0
	v_fma_mix_f32 v72, v42, v1, v72 op_sel_hi:[1,1,0]
	s_nop 0
	v_fma_mix_f32 v72, v43, v1, v72 op_sel:[0,1,0] op_sel_hi:[1,1,0]
	s_nop 0
	;; [unrolled: 4-line block ×4, first 2 shown]
	v_fma_mixlo_f16 v72, v72, v19, 0 op_sel_hi:[0,1,0]
	v_add_f16_e32 v54, v54, v72
	v_fma_mix_f32 v72, v47, v0, 0 op_sel_hi:[1,1,0]
	s_nop 0
	v_fma_mix_f32 v0, v48, v0, v72 op_sel:[0,1,0] op_sel_hi:[1,1,0]
	s_nop 0
	v_fma_mix_f32 v0, v49, v1, v0 op_sel_hi:[1,1,0]
	s_nop 0
	v_fma_mix_f32 v0, v50, v1, v0 op_sel:[0,1,0] op_sel_hi:[1,1,0]
	s_nop 0
	;; [unrolled: 4-line block ×4, first 2 shown]
	v_fma_mixlo_f16 v0, v0, v19, 0 op_sel:[0,1,0] op_sel_hi:[0,1,0]
	v_add_f16_e32 v0, v88, v0
	v_pack_b32_f16 v54, v54, v0
	ds_read_b128 v[0:3], v27 offset:560
	s_waitcnt lgkmcnt(0)
	v_fma_mix_f32 v72, v10, v0, 0 op_sel_hi:[1,1,0]
	s_nop 0
	v_fma_mix_f32 v72, v11, v0, v72 op_sel:[0,1,0] op_sel_hi:[1,1,0]
	s_nop 0
	v_fma_mix_f32 v72, v12, v1, v72 op_sel_hi:[1,1,0]
	s_nop 0
	v_fma_mix_f32 v72, v13, v1, v72 op_sel:[0,1,0] op_sel_hi:[1,1,0]
	s_nop 0
	;; [unrolled: 4-line block ×4, first 2 shown]
	v_fma_mixlo_f16 v72, v72, v18, 0 op_sel_hi:[0,1,0]
	v_add_f16_e32 v57, v57, v72
	v_fma_mix_f32 v72, v33, v0, 0 op_sel_hi:[1,1,0]
	s_nop 0
	v_fma_mix_f32 v72, v34, v0, v72 op_sel:[0,1,0] op_sel_hi:[1,1,0]
	s_nop 0
	v_fma_mix_f32 v72, v35, v1, v72 op_sel_hi:[1,1,0]
	s_nop 0
	v_fma_mix_f32 v72, v36, v1, v72 op_sel:[0,1,0] op_sel_hi:[1,1,0]
	s_nop 0
	;; [unrolled: 4-line block ×4, first 2 shown]
	v_fma_mixlo_f16 v72, v72, v18, 0 op_sel:[0,1,0] op_sel_hi:[0,1,0]
	v_add_f16_e32 v71, v71, v72
	v_pack_b32_f16 v57, v57, v71
	v_fma_mix_f32 v71, v30, v0, 0 op_sel_hi:[1,1,0]
	s_nop 0
	v_fma_mix_f32 v71, v41, v0, v71 op_sel:[0,1,0] op_sel_hi:[1,1,0]
	s_nop 0
	v_fma_mix_f32 v71, v42, v1, v71 op_sel_hi:[1,1,0]
	s_nop 0
	v_fma_mix_f32 v71, v43, v1, v71 op_sel:[0,1,0] op_sel_hi:[1,1,0]
	s_nop 0
	;; [unrolled: 4-line block ×4, first 2 shown]
	v_fma_mixlo_f16 v71, v71, v19, 0 op_sel_hi:[0,1,0]
	v_add_f16_e32 v56, v56, v71
	v_fma_mix_f32 v71, v47, v0, 0 op_sel_hi:[1,1,0]
	s_nop 0
	v_fma_mix_f32 v0, v48, v0, v71 op_sel:[0,1,0] op_sel_hi:[1,1,0]
	s_nop 0
	v_fma_mix_f32 v0, v49, v1, v0 op_sel_hi:[1,1,0]
	s_nop 0
	v_fma_mix_f32 v0, v50, v1, v0 op_sel:[0,1,0] op_sel_hi:[1,1,0]
	s_nop 0
	;; [unrolled: 4-line block ×4, first 2 shown]
	v_fma_mixlo_f16 v0, v0, v19, 0 op_sel:[0,1,0] op_sel_hi:[0,1,0]
	v_add_f16_e32 v0, v70, v0
	v_pack_b32_f16 v56, v56, v0
	ds_read_b128 v[0:3], v27 offset:816
	s_waitcnt lgkmcnt(0)
	v_fma_mix_f32 v70, v10, v0, 0 op_sel_hi:[1,1,0]
	s_nop 0
	v_fma_mix_f32 v70, v11, v0, v70 op_sel:[0,1,0] op_sel_hi:[1,1,0]
	s_nop 0
	v_fma_mix_f32 v70, v12, v1, v70 op_sel_hi:[1,1,0]
	s_nop 0
	v_fma_mix_f32 v70, v13, v1, v70 op_sel:[0,1,0] op_sel_hi:[1,1,0]
	s_nop 0
	;; [unrolled: 4-line block ×4, first 2 shown]
	v_fma_mixlo_f16 v70, v70, v18, 0 op_sel_hi:[0,1,0]
	v_add_f16_e32 v59, v59, v70
	v_fma_mix_f32 v70, v33, v0, 0 op_sel_hi:[1,1,0]
	s_nop 0
	v_fma_mix_f32 v70, v34, v0, v70 op_sel:[0,1,0] op_sel_hi:[1,1,0]
	s_nop 0
	v_fma_mix_f32 v70, v35, v1, v70 op_sel_hi:[1,1,0]
	s_nop 0
	v_fma_mix_f32 v70, v36, v1, v70 op_sel:[0,1,0] op_sel_hi:[1,1,0]
	s_nop 0
	;; [unrolled: 4-line block ×4, first 2 shown]
	v_fma_mixlo_f16 v70, v70, v18, 0 op_sel:[0,1,0] op_sel_hi:[0,1,0]
	v_add_f16_e32 v69, v69, v70
	v_pack_b32_f16 v59, v59, v69
	v_fma_mix_f32 v69, v30, v0, 0 op_sel_hi:[1,1,0]
	s_nop 0
	v_fma_mix_f32 v69, v41, v0, v69 op_sel:[0,1,0] op_sel_hi:[1,1,0]
	s_nop 0
	v_fma_mix_f32 v69, v42, v1, v69 op_sel_hi:[1,1,0]
	s_nop 0
	v_fma_mix_f32 v69, v43, v1, v69 op_sel:[0,1,0] op_sel_hi:[1,1,0]
	s_nop 0
	;; [unrolled: 4-line block ×4, first 2 shown]
	v_fma_mixlo_f16 v69, v69, v19, 0 op_sel_hi:[0,1,0]
	v_add_f16_e32 v58, v58, v69
	v_fma_mix_f32 v69, v47, v0, 0 op_sel_hi:[1,1,0]
	s_nop 0
	v_fma_mix_f32 v0, v48, v0, v69 op_sel:[0,1,0] op_sel_hi:[1,1,0]
	s_nop 0
	v_fma_mix_f32 v0, v49, v1, v0 op_sel_hi:[1,1,0]
	s_nop 0
	v_fma_mix_f32 v0, v50, v1, v0 op_sel:[0,1,0] op_sel_hi:[1,1,0]
	s_nop 0
	;; [unrolled: 4-line block ×4, first 2 shown]
	v_fma_mixlo_f16 v0, v0, v19, 0 op_sel:[0,1,0] op_sel_hi:[0,1,0]
	v_add_f16_e32 v0, v68, v0
	v_pack_b32_f16 v58, v58, v0
	ds_read_b128 v[0:3], v27 offset:1072
	s_waitcnt lgkmcnt(0)
	v_fma_mix_f32 v68, v10, v0, 0 op_sel_hi:[1,1,0]
	s_nop 0
	v_fma_mix_f32 v68, v11, v0, v68 op_sel:[0,1,0] op_sel_hi:[1,1,0]
	s_nop 0
	v_fma_mix_f32 v68, v12, v1, v68 op_sel_hi:[1,1,0]
	s_nop 0
	v_fma_mix_f32 v68, v13, v1, v68 op_sel:[0,1,0] op_sel_hi:[1,1,0]
	s_nop 0
	;; [unrolled: 4-line block ×4, first 2 shown]
	v_fma_mixlo_f16 v68, v68, v18, 0 op_sel_hi:[0,1,0]
	v_add_f16_e32 v61, v61, v68
	v_fma_mix_f32 v68, v33, v0, 0 op_sel_hi:[1,1,0]
	s_nop 0
	v_fma_mix_f32 v68, v34, v0, v68 op_sel:[0,1,0] op_sel_hi:[1,1,0]
	s_nop 0
	v_fma_mix_f32 v68, v35, v1, v68 op_sel_hi:[1,1,0]
	s_nop 0
	v_fma_mix_f32 v68, v36, v1, v68 op_sel:[0,1,0] op_sel_hi:[1,1,0]
	s_nop 0
	;; [unrolled: 4-line block ×4, first 2 shown]
	v_fma_mixlo_f16 v68, v68, v18, 0 op_sel:[0,1,0] op_sel_hi:[0,1,0]
	v_add_f16_e32 v67, v67, v68
	v_pack_b32_f16 v61, v61, v67
	v_fma_mix_f32 v67, v30, v0, 0 op_sel_hi:[1,1,0]
	s_nop 0
	v_fma_mix_f32 v67, v41, v0, v67 op_sel:[0,1,0] op_sel_hi:[1,1,0]
	s_nop 0
	v_fma_mix_f32 v67, v42, v1, v67 op_sel_hi:[1,1,0]
	s_nop 0
	v_fma_mix_f32 v67, v43, v1, v67 op_sel:[0,1,0] op_sel_hi:[1,1,0]
	s_nop 0
	;; [unrolled: 4-line block ×4, first 2 shown]
	v_fma_mixlo_f16 v67, v67, v19, 0 op_sel_hi:[0,1,0]
	v_add_f16_e32 v60, v60, v67
	v_fma_mix_f32 v67, v47, v0, 0 op_sel_hi:[1,1,0]
	s_nop 0
	v_fma_mix_f32 v0, v48, v0, v67 op_sel:[0,1,0] op_sel_hi:[1,1,0]
	s_nop 0
	v_fma_mix_f32 v0, v49, v1, v0 op_sel_hi:[1,1,0]
	s_nop 0
	v_fma_mix_f32 v0, v50, v1, v0 op_sel:[0,1,0] op_sel_hi:[1,1,0]
	s_nop 0
	;; [unrolled: 4-line block ×4, first 2 shown]
	v_fma_mixlo_f16 v0, v0, v19, 0 op_sel:[0,1,0] op_sel_hi:[0,1,0]
	v_add_f16_e32 v0, v66, v0
	v_pack_b32_f16 v60, v60, v0
	ds_read_b128 v[0:3], v27 offset:1328
	s_waitcnt lgkmcnt(0)
	v_fma_mix_f32 v66, v10, v0, 0 op_sel_hi:[1,1,0]
	s_nop 0
	v_fma_mix_f32 v66, v11, v0, v66 op_sel:[0,1,0] op_sel_hi:[1,1,0]
	s_nop 0
	v_fma_mix_f32 v66, v12, v1, v66 op_sel_hi:[1,1,0]
	s_nop 0
	v_fma_mix_f32 v66, v13, v1, v66 op_sel:[0,1,0] op_sel_hi:[1,1,0]
	s_nop 0
	;; [unrolled: 4-line block ×4, first 2 shown]
	v_fma_mixlo_f16 v66, v66, v18, 0 op_sel_hi:[0,1,0]
	v_add_f16_e32 v63, v63, v66
	v_fma_mix_f32 v66, v33, v0, 0 op_sel_hi:[1,1,0]
	s_nop 0
	v_fma_mix_f32 v66, v34, v0, v66 op_sel:[0,1,0] op_sel_hi:[1,1,0]
	s_nop 0
	v_fma_mix_f32 v66, v35, v1, v66 op_sel_hi:[1,1,0]
	s_nop 0
	v_fma_mix_f32 v66, v36, v1, v66 op_sel:[0,1,0] op_sel_hi:[1,1,0]
	s_nop 0
	;; [unrolled: 4-line block ×4, first 2 shown]
	v_fma_mixlo_f16 v66, v66, v18, 0 op_sel:[0,1,0] op_sel_hi:[0,1,0]
	v_add_f16_e32 v65, v65, v66
	v_pack_b32_f16 v63, v63, v65
	v_fma_mix_f32 v65, v30, v0, 0 op_sel_hi:[1,1,0]
	s_nop 0
	v_fma_mix_f32 v65, v41, v0, v65 op_sel:[0,1,0] op_sel_hi:[1,1,0]
	s_nop 0
	v_fma_mix_f32 v65, v42, v1, v65 op_sel_hi:[1,1,0]
	s_nop 0
	v_fma_mix_f32 v65, v43, v1, v65 op_sel:[0,1,0] op_sel_hi:[1,1,0]
	s_nop 0
	v_fma_mix_f32 v65, v44, v2, v65 op_sel_hi:[1,1,0]
	s_nop 0
	v_fma_mix_f32 v65, v45, v2, v65 op_sel:[0,1,0] op_sel_hi:[1,1,0]
	s_nop 0
	v_fma_mix_f32 v65, v46, v3, v65 op_sel_hi:[1,1,0]
	s_nop 0
	v_fma_mix_f32 v65, v29, v3, v65 op_sel:[0,1,0] op_sel_hi:[1,1,0]
	s_nop 0
	v_fma_mixlo_f16 v65, v65, v19, 0 op_sel_hi:[0,1,0]
	v_add_f16_e32 v62, v62, v65
	v_fma_mix_f32 v65, v47, v0, 0 op_sel_hi:[1,1,0]
	s_nop 0
	v_fma_mix_f32 v0, v48, v0, v65 op_sel:[0,1,0] op_sel_hi:[1,1,0]
	s_nop 0
	v_fma_mix_f32 v0, v49, v1, v0 op_sel_hi:[1,1,0]
	s_nop 0
	v_fma_mix_f32 v0, v50, v1, v0 op_sel:[0,1,0] op_sel_hi:[1,1,0]
	s_nop 0
	;; [unrolled: 4-line block ×4, first 2 shown]
	v_fma_mixlo_f16 v0, v0, v19, 0 op_sel:[0,1,0] op_sel_hi:[0,1,0]
	v_add_f16_e32 v0, v64, v0
	v_pack_b32_f16 v62, v62, v0
	ds_read_b128 v[0:3], v27 offset:1584
	s_waitcnt lgkmcnt(0)
	v_fma_mix_f32 v10, v10, v0, 0 op_sel_hi:[1,1,0]
	s_nop 0
	v_fma_mix_f32 v10, v11, v0, v10 op_sel:[0,1,0] op_sel_hi:[1,1,0]
	s_nop 0
	v_fma_mix_f32 v10, v12, v1, v10 op_sel_hi:[1,1,0]
	s_nop 0
	v_fma_mix_f32 v10, v13, v1, v10 op_sel:[0,1,0] op_sel_hi:[1,1,0]
	s_nop 0
	;; [unrolled: 4-line block ×4, first 2 shown]
	v_fma_mixlo_f16 v10, v10, v18, 0 op_sel_hi:[0,1,0]
	v_add_f16_e32 v8, v8, v10
	v_fma_mix_f32 v10, v33, v0, 0 op_sel_hi:[1,1,0]
	s_nop 0
	v_fma_mix_f32 v10, v34, v0, v10 op_sel:[0,1,0] op_sel_hi:[1,1,0]
	s_nop 0
	v_fma_mix_f32 v10, v35, v1, v10 op_sel_hi:[1,1,0]
	s_nop 0
	v_fma_mix_f32 v10, v36, v1, v10 op_sel:[0,1,0] op_sel_hi:[1,1,0]
	s_nop 0
	;; [unrolled: 4-line block ×4, first 2 shown]
	v_fma_mixlo_f16 v10, v10, v18, 0 op_sel:[0,1,0] op_sel_hi:[0,1,0]
	v_add_f16_e32 v9, v9, v10
	v_pack_b32_f16 v20, v8, v9
	v_fma_mix_f32 v8, v30, v0, 0 op_sel_hi:[1,1,0]
	s_nop 0
	v_fma_mix_f32 v8, v41, v0, v8 op_sel:[0,1,0] op_sel_hi:[1,1,0]
	s_nop 0
	v_fma_mix_f32 v8, v42, v1, v8 op_sel_hi:[1,1,0]
	s_nop 0
	v_fma_mix_f32 v8, v43, v1, v8 op_sel:[0,1,0] op_sel_hi:[1,1,0]
	s_nop 0
	;; [unrolled: 4-line block ×4, first 2 shown]
	v_fma_mixlo_f16 v8, v8, v19, 0 op_sel_hi:[0,1,0]
	v_add_f16_e32 v6, v6, v8
	v_fma_mix_f32 v8, v47, v0, 0 op_sel_hi:[1,1,0]
	s_nop 0
	v_fma_mix_f32 v0, v48, v0, v8 op_sel:[0,1,0] op_sel_hi:[1,1,0]
	s_nop 0
	v_fma_mix_f32 v0, v49, v1, v0 op_sel_hi:[1,1,0]
	s_nop 0
	v_fma_mix_f32 v0, v50, v1, v0 op_sel:[0,1,0] op_sel_hi:[1,1,0]
	s_nop 0
	;; [unrolled: 4-line block ×4, first 2 shown]
	v_fma_mixlo_f16 v0, v0, v19, 0 op_sel:[0,1,0] op_sel_hi:[0,1,0]
	v_add_f16_e32 v0, v7, v0
	v_pack_b32_f16 v32, v6, v0
	v_lshl_add_u64 v[0:1], v[4:5], 0, s[0:1]
	s_cbranch_scc1 .LBB42_22
.LBB42_20:                              ; =>This Inner Loop Header: Depth=1
	s_cmp_lg_u32 s24, s6
	s_cbranch_scc1 .LBB42_19
; %bb.21:                               ;   in Loop: Header=BB42_20 Depth=1
	s_add_i32 s5, s5, 1
	s_mul_i32 s7, s5, s16
	s_ashr_i32 s8, s7, 31
	s_lshr_b32 s8, s8, 30
	s_add_i32 s8, s7, s8
	s_ashr_i32 s8, s8, 2
	v_add_u32_e32 v2, s8, v22
	v_ashrrev_i32_e32 v3, 31, v2
	v_lshl_add_u64 v[2:3], v[2:3], 2, s[10:11]
	global_load_dword v4, v[2:3], off
	v_add_u32_e32 v2, s7, v16
	v_ashrrev_i32_e32 v3, 31, v2
	v_lshl_add_u64 v[2:3], v[2:3], 1, s[12:13]
	global_load_dwordx2 v[18:19], v[2:3], off
	s_add_i32 s6, s6, s4
	s_waitcnt vmcnt(1)
	v_and_b32_e32 v17, 0xff, v4
	v_bfe_u32 v24, v4, 8, 8
	v_bfe_u32 v25, v4, 16, 8
	v_lshrrev_b32_e32 v26, 24, v4
	s_branch .LBB42_19
.LBB42_22:
	s_mul_i32 s3, s3, s16
	v_add_u32_e32 v0, s3, v16
	v_ashrrev_i32_e32 v1, 31, v0
	v_lshl_add_u64 v[2:3], v[0:1], 1, s[14:15]
	global_load_dword v5, v[2:3], off
	s_mov_b64 s[0:1], 0
.LBB42_23:                              ; =>This Inner Loop Header: Depth=1
	s_waitcnt vmcnt(0)
	v_pk_add_f16 v4, v15, v5
	global_atomic_cmpswap v1, v[2:3], v[4:5], off sc0
	s_waitcnt vmcnt(0)
	v_cmp_eq_u32_e32 vcc, v5, v1
	s_or_b64 s[0:1], vcc, s[0:1]
	v_mov_b32_e32 v5, v1
	s_andn2_b64 exec, exec, s[0:1]
	s_cbranch_execnz .LBB42_23
; %bb.24:
	s_or_b64 exec, exec, s[0:1]
	global_load_dword v5, v[2:3], off offset:4
	s_mov_b64 s[0:1], 0
.LBB42_25:                              ; =>This Inner Loop Header: Depth=1
	s_waitcnt vmcnt(0)
	v_pk_add_f16 v4, v14, v5
	global_atomic_cmpswap v1, v[2:3], v[4:5], off offset:4 sc0
	s_waitcnt vmcnt(0)
	v_cmp_eq_u32_e32 vcc, v5, v1
	s_or_b64 s[0:1], vcc, s[0:1]
	v_mov_b32_e32 v5, v1
	s_andn2_b64 exec, exec, s[0:1]
	s_cbranch_execnz .LBB42_25
; %bb.26:
	s_or_b64 exec, exec, s[0:1]
	v_add_u32_e32 v0, s16, v0
	v_ashrrev_i32_e32 v1, 31, v0
	v_lshl_add_u64 v[2:3], v[0:1], 1, s[14:15]
	global_load_dword v5, v[2:3], off
	s_mov_b64 s[0:1], 0
.LBB42_27:                              ; =>This Inner Loop Header: Depth=1
	s_waitcnt vmcnt(0)
	v_pk_add_f16 v4, v55, v5
	global_atomic_cmpswap v1, v[2:3], v[4:5], off sc0
	s_waitcnt vmcnt(0)
	v_cmp_eq_u32_e32 vcc, v5, v1
	s_or_b64 s[0:1], vcc, s[0:1]
	v_mov_b32_e32 v5, v1
	s_andn2_b64 exec, exec, s[0:1]
	s_cbranch_execnz .LBB42_27
; %bb.28:
	s_or_b64 exec, exec, s[0:1]
	global_load_dword v5, v[2:3], off offset:4
	s_mov_b64 s[0:1], 0
.LBB42_29:                              ; =>This Inner Loop Header: Depth=1
	s_waitcnt vmcnt(0)
	v_pk_add_f16 v4, v54, v5
	global_atomic_cmpswap v1, v[2:3], v[4:5], off offset:4 sc0
	s_waitcnt vmcnt(0)
	v_cmp_eq_u32_e32 vcc, v5, v1
	s_or_b64 s[0:1], vcc, s[0:1]
	v_mov_b32_e32 v5, v1
	s_andn2_b64 exec, exec, s[0:1]
	s_cbranch_execnz .LBB42_29
; %bb.30:
	s_or_b64 exec, exec, s[0:1]
	;; [unrolled: 31-line block ×6, first 2 shown]
	v_add_u32_e32 v0, s16, v0
	v_ashrrev_i32_e32 v1, 31, v0
	v_lshl_add_u64 v[0:1], v[0:1], 1, s[14:15]
	global_load_dword v3, v[0:1], off
	s_mov_b64 s[0:1], 0
.LBB42_47:                              ; =>This Inner Loop Header: Depth=1
	s_waitcnt vmcnt(0)
	v_pk_add_f16 v2, v20, v3
	global_atomic_cmpswap v2, v[0:1], v[2:3], off sc0
	s_waitcnt vmcnt(0)
	v_cmp_eq_u32_e32 vcc, v3, v2
	s_or_b64 s[0:1], vcc, s[0:1]
	v_mov_b32_e32 v3, v2
	s_andn2_b64 exec, exec, s[0:1]
	s_cbranch_execnz .LBB42_47
; %bb.48:
	s_or_b64 exec, exec, s[0:1]
	global_load_dword v3, v[0:1], off offset:4
	s_mov_b64 s[0:1], 0
.LBB42_49:                              ; =>This Inner Loop Header: Depth=1
	s_waitcnt vmcnt(0)
	v_pk_add_f16 v2, v32, v3
	global_atomic_cmpswap v2, v[0:1], v[2:3], off offset:4 sc0
	s_waitcnt vmcnt(0)
	v_cmp_eq_u32_e32 vcc, v3, v2
	s_or_b64 s[0:1], vcc, s[0:1]
	v_mov_b32_e32 v3, v2
	s_andn2_b64 exec, exec, s[0:1]
	s_cbranch_execnz .LBB42_49
.LBB42_50:
	s_endpgm
	.section	.rodata,"a",@progbits
	.p2align	6, 0x0
	.amdhsa_kernel _ZN4vllm4gptq33gemm_half_q_half_gptq_8bit_kernelILb1ELi7EEEvPK6__halfPKjS6_S4_PS2_iiiibPKi
		.amdhsa_group_segment_fixed_size 1792
		.amdhsa_private_segment_fixed_size 0
		.amdhsa_kernarg_size 72
		.amdhsa_user_sgpr_count 2
		.amdhsa_user_sgpr_dispatch_ptr 0
		.amdhsa_user_sgpr_queue_ptr 0
		.amdhsa_user_sgpr_kernarg_segment_ptr 1
		.amdhsa_user_sgpr_dispatch_id 0
		.amdhsa_user_sgpr_kernarg_preload_length 0
		.amdhsa_user_sgpr_kernarg_preload_offset 0
		.amdhsa_user_sgpr_private_segment_size 0
		.amdhsa_uses_dynamic_stack 0
		.amdhsa_enable_private_segment 0
		.amdhsa_system_sgpr_workgroup_id_x 1
		.amdhsa_system_sgpr_workgroup_id_y 1
		.amdhsa_system_sgpr_workgroup_id_z 1
		.amdhsa_system_sgpr_workgroup_info 0
		.amdhsa_system_vgpr_workitem_id 0
		.amdhsa_next_free_vgpr 104
		.amdhsa_next_free_sgpr 26
		.amdhsa_accum_offset 104
		.amdhsa_reserve_vcc 1
		.amdhsa_float_round_mode_32 0
		.amdhsa_float_round_mode_16_64 0
		.amdhsa_float_denorm_mode_32 3
		.amdhsa_float_denorm_mode_16_64 3
		.amdhsa_dx10_clamp 1
		.amdhsa_ieee_mode 1
		.amdhsa_fp16_overflow 0
		.amdhsa_tg_split 0
		.amdhsa_exception_fp_ieee_invalid_op 0
		.amdhsa_exception_fp_denorm_src 0
		.amdhsa_exception_fp_ieee_div_zero 0
		.amdhsa_exception_fp_ieee_overflow 0
		.amdhsa_exception_fp_ieee_underflow 0
		.amdhsa_exception_fp_ieee_inexact 0
		.amdhsa_exception_int_div_zero 0
	.end_amdhsa_kernel
	.section	.text._ZN4vllm4gptq33gemm_half_q_half_gptq_8bit_kernelILb1ELi7EEEvPK6__halfPKjS6_S4_PS2_iiiibPKi,"axG",@progbits,_ZN4vllm4gptq33gemm_half_q_half_gptq_8bit_kernelILb1ELi7EEEvPK6__halfPKjS6_S4_PS2_iiiibPKi,comdat
.Lfunc_end42:
	.size	_ZN4vllm4gptq33gemm_half_q_half_gptq_8bit_kernelILb1ELi7EEEvPK6__halfPKjS6_S4_PS2_iiiibPKi, .Lfunc_end42-_ZN4vllm4gptq33gemm_half_q_half_gptq_8bit_kernelILb1ELi7EEEvPK6__halfPKjS6_S4_PS2_iiiibPKi
                                        ; -- End function
	.set _ZN4vllm4gptq33gemm_half_q_half_gptq_8bit_kernelILb1ELi7EEEvPK6__halfPKjS6_S4_PS2_iiiibPKi.num_vgpr, 104
	.set _ZN4vllm4gptq33gemm_half_q_half_gptq_8bit_kernelILb1ELi7EEEvPK6__halfPKjS6_S4_PS2_iiiibPKi.num_agpr, 0
	.set _ZN4vllm4gptq33gemm_half_q_half_gptq_8bit_kernelILb1ELi7EEEvPK6__halfPKjS6_S4_PS2_iiiibPKi.numbered_sgpr, 26
	.set _ZN4vllm4gptq33gemm_half_q_half_gptq_8bit_kernelILb1ELi7EEEvPK6__halfPKjS6_S4_PS2_iiiibPKi.num_named_barrier, 0
	.set _ZN4vllm4gptq33gemm_half_q_half_gptq_8bit_kernelILb1ELi7EEEvPK6__halfPKjS6_S4_PS2_iiiibPKi.private_seg_size, 0
	.set _ZN4vllm4gptq33gemm_half_q_half_gptq_8bit_kernelILb1ELi7EEEvPK6__halfPKjS6_S4_PS2_iiiibPKi.uses_vcc, 1
	.set _ZN4vllm4gptq33gemm_half_q_half_gptq_8bit_kernelILb1ELi7EEEvPK6__halfPKjS6_S4_PS2_iiiibPKi.uses_flat_scratch, 0
	.set _ZN4vllm4gptq33gemm_half_q_half_gptq_8bit_kernelILb1ELi7EEEvPK6__halfPKjS6_S4_PS2_iiiibPKi.has_dyn_sized_stack, 0
	.set _ZN4vllm4gptq33gemm_half_q_half_gptq_8bit_kernelILb1ELi7EEEvPK6__halfPKjS6_S4_PS2_iiiibPKi.has_recursion, 0
	.set _ZN4vllm4gptq33gemm_half_q_half_gptq_8bit_kernelILb1ELi7EEEvPK6__halfPKjS6_S4_PS2_iiiibPKi.has_indirect_call, 0
	.section	.AMDGPU.csdata,"",@progbits
; Kernel info:
; codeLenInByte = 16900
; TotalNumSgprs: 32
; NumVgprs: 104
; NumAgprs: 0
; TotalNumVgprs: 104
; ScratchSize: 0
; MemoryBound: 0
; FloatMode: 240
; IeeeMode: 1
; LDSByteSize: 1792 bytes/workgroup (compile time only)
; SGPRBlocks: 3
; VGPRBlocks: 12
; NumSGPRsForWavesPerEU: 32
; NumVGPRsForWavesPerEU: 104
; AccumOffset: 104
; Occupancy: 4
; WaveLimiterHint : 0
; COMPUTE_PGM_RSRC2:SCRATCH_EN: 0
; COMPUTE_PGM_RSRC2:USER_SGPR: 2
; COMPUTE_PGM_RSRC2:TRAP_HANDLER: 0
; COMPUTE_PGM_RSRC2:TGID_X_EN: 1
; COMPUTE_PGM_RSRC2:TGID_Y_EN: 1
; COMPUTE_PGM_RSRC2:TGID_Z_EN: 1
; COMPUTE_PGM_RSRC2:TIDIG_COMP_CNT: 0
; COMPUTE_PGM_RSRC3_GFX90A:ACCUM_OFFSET: 25
; COMPUTE_PGM_RSRC3_GFX90A:TG_SPLIT: 0
	.section	.text._ZN4vllm4gptq33gemm_half_q_half_gptq_2bit_kernelILb1ELi8EEEvPK6__halfPKjS6_S4_PS2_iiiibPKi,"axG",@progbits,_ZN4vllm4gptq33gemm_half_q_half_gptq_2bit_kernelILb1ELi8EEEvPK6__halfPKjS6_S4_PS2_iiiibPKi,comdat
	.protected	_ZN4vllm4gptq33gemm_half_q_half_gptq_2bit_kernelILb1ELi8EEEvPK6__halfPKjS6_S4_PS2_iiiibPKi ; -- Begin function _ZN4vllm4gptq33gemm_half_q_half_gptq_2bit_kernelILb1ELi8EEEvPK6__halfPKjS6_S4_PS2_iiiibPKi
	.globl	_ZN4vllm4gptq33gemm_half_q_half_gptq_2bit_kernelILb1ELi8EEEvPK6__halfPKjS6_S4_PS2_iiiibPKi
	.p2align	8
	.type	_ZN4vllm4gptq33gemm_half_q_half_gptq_2bit_kernelILb1ELi8EEEvPK6__halfPKjS6_S4_PS2_iiiibPKi,@function
_ZN4vllm4gptq33gemm_half_q_half_gptq_2bit_kernelILb1ELi8EEEvPK6__halfPKjS6_S4_PS2_iiiibPKi: ; @_ZN4vllm4gptq33gemm_half_q_half_gptq_2bit_kernelILb1ELi8EEEvPK6__halfPKjS6_S4_PS2_iiiibPKi
; %bb.0:
	s_load_dwordx8 s[8:15], s[0:1], 0x8
	s_load_dwordx4 s[16:19], s[0:1], 0x2c
	s_lshl_b32 s24, s4, 7
	s_add_i32 s4, s24, 0x80
	v_cvt_f64_u32_e32 v[2:3], s4
	s_lshl_b32 s3, s3, 3
	s_waitcnt lgkmcnt(0)
	v_cvt_f64_i32_e32 v[4:5], s17
	v_min_f64 v[2:3], v[2:3], v[4:5]
	v_cvt_i32_f64_e32 v1, v[2:3]
	v_add_u32_e32 v2, s24, v0
	v_readfirstlane_b32 s25, v1
	v_cmp_lt_u32_e32 vcc, v2, v1
	s_and_saveexec_b64 s[4:5], vcc
	s_cbranch_execz .LBB43_18
; %bb.1:
	s_load_dwordx2 s[22:23], s[0:1], 0x40
	s_load_dwordx2 s[6:7], s[0:1], 0x0
	v_mov_b32_e32 v3, 0
	v_mov_b64_e32 v[6:7], v[2:3]
	s_waitcnt lgkmcnt(0)
	s_cmp_lg_u64 s[22:23], 0
	s_cselect_b64 s[20:21], -1, 0
	s_cmp_eq_u64 s[22:23], 0
	v_lshl_add_u64 v[4:5], v[2:3], 2, s[22:23]
	s_cbranch_scc1 .LBB43_3
; %bb.2:
	global_load_dword v6, v[4:5], off
	s_waitcnt vmcnt(0)
	v_ashrrev_i32_e32 v7, 31, v6
.LBB43_3:
	s_mul_i32 s22, s3, s17
	s_ashr_i32 s23, s22, 31
	s_lshl_b64 s[0:1], s[22:23], 1
	s_add_u32 s0, s6, s0
	s_addc_u32 s1, s7, s1
	v_lshl_add_u64 v[6:7], v[6:7], 1, s[0:1]
	global_load_ushort v6, v[6:7], off
	v_lshlrev_b32_e32 v1, 1, v0
	v_cndmask_b32_e64 v7, 0, 1, s[20:21]
	v_cmp_ne_u32_e64 s[0:1], 1, v7
	s_andn2_b64 vcc, exec, s[20:21]
	s_waitcnt vmcnt(0)
	ds_write_b16 v1, v6
	v_mov_b64_e32 v[6:7], v[2:3]
	s_cbranch_vccnz .LBB43_5
; %bb.4:
	global_load_dword v6, v[4:5], off
	s_waitcnt vmcnt(0)
	v_ashrrev_i32_e32 v7, 31, v6
.LBB43_5:
	s_add_i32 s20, s22, s17
	s_ashr_i32 s21, s20, 31
	s_lshl_b64 s[22:23], s[20:21], 1
	s_add_u32 s22, s6, s22
	s_addc_u32 s23, s7, s23
	v_lshl_add_u64 v[6:7], v[6:7], 1, s[22:23]
	global_load_ushort v6, v[6:7], off
	s_and_b64 vcc, exec, s[0:1]
	s_waitcnt vmcnt(0)
	ds_write_b16 v1, v6 offset:256
	v_mov_b64_e32 v[6:7], v[2:3]
	s_cbranch_vccnz .LBB43_7
; %bb.6:
	global_load_dword v6, v[4:5], off
	s_waitcnt vmcnt(0)
	v_ashrrev_i32_e32 v7, 31, v6
.LBB43_7:
	s_add_i32 s20, s20, s17
	s_ashr_i32 s21, s20, 31
	s_lshl_b64 s[22:23], s[20:21], 1
	s_add_u32 s22, s6, s22
	s_addc_u32 s23, s7, s23
	v_lshl_add_u64 v[6:7], v[6:7], 1, s[22:23]
	global_load_ushort v6, v[6:7], off
	s_and_b64 vcc, exec, s[0:1]
	s_waitcnt vmcnt(0)
	ds_write_b16 v1, v6 offset:512
	;; [unrolled: 17-line block ×6, first 2 shown]
	s_cbranch_vccnz .LBB43_17
; %bb.16:
	global_load_dword v2, v[4:5], off
	s_waitcnt vmcnt(0)
	v_ashrrev_i32_e32 v3, 31, v2
.LBB43_17:
	s_add_i32 s0, s20, s17
	s_ashr_i32 s1, s0, 31
	s_lshl_b64 s[0:1], s[0:1], 1
	s_add_u32 s0, s6, s0
	s_addc_u32 s1, s7, s1
	v_lshl_add_u64 v[2:3], v[2:3], 1, s[0:1]
	global_load_ushort v2, v[2:3], off
	s_waitcnt vmcnt(0)
	ds_write_b16 v1, v2 offset:1792
.LBB43_18:
	s_or_b64 exec, exec, s[4:5]
	v_lshlrev_b32_e32 v1, 2, v0
	v_lshl_add_u32 v4, s2, 9, v1
	v_cmp_gt_i32_e32 vcc, s16, v4
	s_and_saveexec_b64 s[0:1], vcc
	s_cbranch_execz .LBB43_56
; %bb.19:
	s_abs_i32 s0, s18
	v_cvt_f32_u32_e32 v1, s0
	s_mov_b32 s2, 0
	v_mov_b32_e32 v30, 0
	v_mov_b32_e32 v28, 0
	v_rcp_iflag_f32_e32 v1, v1
	v_mov_b32_e32 v27, 0
	v_mov_b32_e32 v26, 0
	s_cmp_ge_i32 s24, s25
	v_mul_f32_e32 v1, 0x4f7ffffe, v1
	v_cvt_u32_f32_e32 v1, v1
	v_mov_b32_e32 v25, 0
	v_mov_b32_e32 v24, 0
	;; [unrolled: 1-line block ×3, first 2 shown]
	v_readfirstlane_b32 s1, v1
	v_mov_b32_e32 v22, 0
	v_mov_b32_e32 v21, 0
	;; [unrolled: 1-line block ×9, first 2 shown]
	s_waitcnt lgkmcnt(0)
	s_barrier
	s_cbranch_scc1 .LBB43_24
; %bb.20:
	s_sub_i32 s7, 0, s0
	s_mul_i32 s7, s7, s1
	s_mul_hi_u32 s7, s1, s7
	s_abs_i32 s6, s17
	s_add_i32 s1, s1, s7
	s_ashr_i32 s4, s17, 31
	s_ashr_i32 s5, s18, 31
	s_mul_hi_u32 s1, s6, s1
	s_xor_b32 s4, s4, s5
	s_mul_i32 s5, s1, s0
	s_sub_i32 s5, s6, s5
	s_add_i32 s6, s1, 1
	s_sub_i32 s7, s5, s0
	s_cmp_ge_u32 s5, s0
	s_cselect_b32 s1, s6, s1
	s_cselect_b32 s5, s7, s5
	s_add_i32 s6, s1, 1
	s_cmp_ge_u32 s5, s0
	s_cselect_b32 s0, s6, s1
	s_xor_b32 s0, s0, s4
	s_sub_i32 s4, s0, s4
	v_cvt_f32_u32_e32 v1, s4
	s_bitcmp1_b32 s19, 0
	s_cselect_b64 s[0:1], -1, 0
	s_sub_i32 s5, 0, s4
	v_rcp_iflag_f32_e32 v1, v1
	s_xor_b64 s[0:1], s[0:1], -1
	v_ashrrev_i32_e32 v5, 31, v4
	v_lshrrev_b32_e32 v2, 28, v5
	v_mul_f32_e32 v1, 0x4f7ffffe, v1
	v_cvt_u32_f32_e32 v1, v1
	v_add_u32_e32 v2, v4, v2
	v_ashrrev_i32_e32 v29, 4, v2
	v_cndmask_b32_e64 v33, 0, 1, s[0:1]
	v_readfirstlane_b32 s6, v1
	s_mul_i32 s5, s5, s6
	s_mul_hi_u32 s5, s6, s5
	s_add_i32 s6, s6, s5
	s_mul_hi_u32 s5, s24, s6
	s_mul_i32 s6, s5, s4
	s_sub_i32 s6, s24, s6
	s_add_i32 s7, s5, 1
	s_sub_i32 s17, s6, s4
	s_cmp_ge_u32 s6, s4
	s_cselect_b32 s5, s7, s5
	s_cselect_b32 s6, s17, s6
	s_add_i32 s7, s5, 1
	s_cmp_ge_u32 s6, s4
	s_cselect_b32 s5, s7, s5
	s_mul_i32 s6, s5, s16
	s_ashr_i32 s7, s6, 31
	s_lshr_b32 s7, s7, 28
	s_add_i32 s7, s6, s7
	s_ashr_i32 s7, s7, 4
	v_add_u32_e32 v2, s7, v29
	v_ashrrev_i32_e32 v3, 31, v2
	v_lshl_add_u64 v[2:3], v[2:3], 2, s[10:11]
	global_load_dword v10, v[2:3], off
	v_add_u32_e32 v2, s6, v4
	v_ashrrev_i32_e32 v3, 31, v2
	v_lshl_add_u64 v[2:3], v[2:3], 1, s[12:13]
	global_load_dwordx2 v[6:7], v[2:3], off
	s_lshr_b32 s0, s24, 4
	s_mul_i32 s0, s16, s0
	s_ashr_i32 s1, s0, 31
	s_add_i32 s21, s4, s24
	s_ashr_i32 s17, s16, 31
	s_lshl_b64 s[0:1], s[0:1], 2
	s_add_u32 s8, s8, s0
	s_addc_u32 s9, s9, s1
	v_lshlrev_b32_e32 v2, 3, v0
	v_lshl_add_u64 v[0:1], v[4:5], 2, s[8:9]
	v_and_b32_e32 v32, 24, v2
	v_lshl_add_u64 v[8:9], v[0:1], 0, 8
	v_mov_b32_e32 v14, 0
	s_mov_b32 s6, 0x10001
	v_mov_b32_e32 v31, 0xe400e400
	s_movk_i32 s7, 0x3400
	s_movk_i32 s18, 0x2c00
	;; [unrolled: 1-line block ×3, first 2 shown]
	s_mov_b32 s20, 0x7060302
	v_mov_b32_e32 v15, 0
	v_mov_b32_e32 v16, 0
	v_mov_b32_e32 v17, 0
	v_mov_b32_e32 v18, 0
	v_mov_b32_e32 v19, 0
	v_mov_b32_e32 v20, 0
	v_mov_b32_e32 v21, 0
	v_mov_b32_e32 v22, 0
	v_mov_b32_e32 v23, 0
	v_mov_b32_e32 v24, 0
	v_mov_b32_e32 v25, 0
	v_mov_b32_e32 v26, 0
	v_mov_b32_e32 v27, 0
	v_mov_b32_e32 v28, 0
	s_lshl_b64 s[0:1], s[16:17], 2
	v_mov_b32_e32 v30, 0
	s_waitcnt vmcnt(1)
	v_lshrrev_b32_e32 v0, v2, v10
	v_bfe_u32 v5, v10, v32, 2
	v_bfe_u32 v34, v0, 2, 2
	;; [unrolled: 1-line block ×4, first 2 shown]
	s_branch .LBB43_22
.LBB43_21:                              ;   in Loop: Header=BB43_22 Depth=1
	global_load_dwordx4 v[0:3], v[8:9], off offset:-8
	v_add_u32_e32 v10, v5, v33
	v_add_u32_e32 v11, v34, v33
	;; [unrolled: 1-line block ×4, first 2 shown]
	v_cvt_f32_i32_e32 v37, v10
	v_cvt_f32_i32_e32 v41, v11
	;; [unrolled: 1-line block ×4, first 2 shown]
	v_and_b32_e32 v40, 0x1bff, v10
	v_cvt_f16_f32_e32 v37, v37
	v_mad_u32_u24 v51, v40, s6, v31
	v_cvt_f16_f32_e32 v40, v41
	v_cvt_f16_f32_e32 v43, v43
	;; [unrolled: 1-line block ×3, first 2 shown]
	v_and_b32_e32 v42, 0x1bff, v11
	v_and_b32_e32 v48, 0x1bff, v13
	v_sub_f16_e32 v41, 0xdc00, v37
	v_sub_f16_e32 v50, 0xd400, v37
	;; [unrolled: 1-line block ×3, first 2 shown]
	v_mov_b32_e32 v73, s2
	v_mad_u32_u24 v52, v42, s6, v31
	v_mad_u32_u24 v56, v48, s6, v31
	v_sub_f16_e32 v42, 0xdc00, v40
	v_sub_f16_e32 v48, 0xdc00, v43
	;; [unrolled: 1-line block ×4, first 2 shown]
	v_mul_u32_u24_e32 v63, 0x10001, v37
	v_and_b32_e32 v46, 0x1bff, v12
	ds_read2_b32 v[38:39], v73 offset1:1
	ds_read2_b32 v[44:45], v73 offset0:2 offset1:3
	ds_read2_b32 v[12:13], v73 offset0:4 offset1:5
	;; [unrolled: 1-line block ×3, first 2 shown]
	v_mul_u32_u24_e32 v55, 0x10001, v41
	v_mul_u32_u24_e32 v57, 0x10001, v42
	;; [unrolled: 1-line block ×6, first 2 shown]
	v_mad_u32_u24 v46, v46, s6, v31
	v_sub_f16_e32 v40, 0xcc00, v40
	v_mul_u32_u24_e32 v78, 0x10001, v40
	s_add_i32 s8, s2, 0x400
	s_add_i32 s9, s2, 0x408
	;; [unrolled: 1-line block ×4, first 2 shown]
	v_mov_b32_e32 v84, s22
	s_add_i32 s24, s24, 16
	v_lshl_add_u64 v[8:9], v[8:9], 0, s[0:1]
	s_waitcnt vmcnt(0)
	v_and_b32_e32 v37, 0x30003, v0
	v_and_b32_e32 v41, 0xc000c, v0
	v_and_b32_e32 v48, 0x300030, v0
	v_and_b32_e32 v53, 0xc000c0, v0
	v_lshrrev_b32_e32 v65, 8, v0
	v_and_b32_e32 v0, 0x30003, v1
	v_and_b32_e32 v42, 0xc000c, v1
	v_and_b32_e32 v58, 0x300030, v1
	v_and_b32_e32 v59, 0xc000c0, v1
	v_lshrrev_b32_e32 v66, 8, v1
	;; [unrolled: 5-line block ×4, first 2 shown]
	v_or_b32_e32 v3, 0x64006400, v37
	v_or_b32_e32 v37, 0x64006400, v41
	;; [unrolled: 1-line block ×6, first 2 shown]
	v_pk_add_f16 v49, v51, v3
	v_or_b32_e32 v75, 0x64006400, v50
	v_pk_fma_f16 v50, v37, s7, v55 op_sel_hi:[1,0,1]
	v_pk_add_f16 v41, v52, v0
	v_pk_add_f16 v2, v46, v1
	;; [unrolled: 1-line block ×3, first 2 shown]
	s_waitcnt lgkmcnt(3)
	v_pk_fma_f16 v37, v49, v38, 0
	v_pk_fma_f16 v3, v54, s7, v60 op_sel_hi:[1,0,1]
	v_pk_fma_f16 v1, v75, s7, v61 op_sel_hi:[1,0,1]
	v_pk_fma_f16 v54, v41, v38, 0
	v_pk_fma_f16 v74, v2, v38, 0
	;; [unrolled: 1-line block ×4, first 2 shown]
	v_sub_f16_e32 v37, 0xd400, v43
	v_pk_fma_f16 v77, v1, v39, v38
	v_sub_f16_e32 v38, 0xcc00, v43
	v_mul_u32_u24_e32 v79, 0x10001, v37
	v_sub_f16_e32 v37, 0xd400, v47
	v_or_b32_e32 v42, 0x64006400, v42
	v_mul_u32_u24_e32 v80, 0x10001, v38
	v_sub_f16_e32 v38, 0xcc00, v47
	v_mul_u32_u24_e32 v81, 0x10001, v37
	v_or_b32_e32 v37, 0x64006400, v48
	v_pk_fma_f16 v42, v42, s7, v57 op_sel_hi:[1,0,1]
	v_mul_u32_u24_e32 v82, 0x10001, v38
	v_or_b32_e32 v38, 0x64006400, v53
	v_pk_fma_f16 v53, v37, s18, v62 op_sel_hi:[1,0,1]
	v_or_b32_e32 v37, 0x64006400, v58
	v_pk_fma_f16 v76, v42, v39, v54
	v_pk_fma_f16 v54, v38, s19, v63 op_sel_hi:[1,0,1]
	v_or_b32_e32 v38, 0x64006400, v59
	v_pk_fma_f16 v47, v37, s18, v64 op_sel_hi:[1,0,1]
	v_or_b32_e32 v37, 0x64006400, v67
	s_waitcnt lgkmcnt(2)
	v_pk_fma_f16 v43, v53, v44, v75
	v_pk_fma_f16 v74, v3, v39, v74
	v_pk_fma_f16 v48, v38, s19, v78 op_sel_hi:[1,0,1]
	v_or_b32_e32 v38, 0x64006400, v68
	v_pk_fma_f16 v39, v37, s18, v79 op_sel_hi:[1,0,1]
	v_or_b32_e32 v37, 0x64006400, v70
	v_pk_fma_f16 v67, v54, v45, v43
	v_pk_fma_f16 v43, v47, v44, v76
	v_pk_fma_f16 v40, v38, s19, v80 op_sel_hi:[1,0,1]
	v_or_b32_e32 v38, 0x64006400, v71
	v_pk_fma_f16 v37, v37, s18, v81 op_sel_hi:[1,0,1]
	v_pk_fma_f16 v68, v48, v45, v43
	v_pk_fma_f16 v43, v39, v44, v74
	v_pk_fma_f16 v38, v38, s19, v82 op_sel_hi:[1,0,1]
	v_pk_fma_f16 v70, v40, v45, v43
	v_pk_fma_f16 v43, v37, v44, v77
	s_nop 0
	v_pk_fma_f16 v71, v38, v45, v43
	v_and_b32_e32 v43, 0x30003, v65
	v_or_b32_e32 v43, 0x64006400, v43
	v_pk_add_f16 v58, v51, v43
	v_and_b32_e32 v43, 0xc000c, v65
	v_or_b32_e32 v43, 0x64006400, v43
	v_pk_fma_f16 v59, v43, s7, v55 op_sel_hi:[1,0,1]
	v_and_b32_e32 v43, 0x30003, v66
	v_or_b32_e32 v43, 0x64006400, v43
	v_pk_add_f16 v55, v52, v43
	v_and_b32_e32 v43, 0xc000c, v66
	v_or_b32_e32 v43, 0x64006400, v43
	v_pk_fma_f16 v57, v43, s7, v57 op_sel_hi:[1,0,1]
	;; [unrolled: 6-line block ×3, first 2 shown]
	v_and_b32_e32 v43, 0x30003, v72
	v_or_b32_e32 v43, 0x64006400, v43
	v_and_b32_e32 v45, 0xc000c, v72
	s_waitcnt lgkmcnt(1)
	v_pk_fma_f16 v51, v58, v12, v67
	v_pk_add_f16 v43, v56, v43
	v_or_b32_e32 v45, 0x64006400, v45
	v_pk_fma_f16 v56, v59, v13, v51
	v_pk_fma_f16 v51, v55, v12, v68
	v_pk_fma_f16 v45, v45, s7, v61 op_sel_hi:[1,0,1]
	v_pk_fma_f16 v67, v57, v13, v51
	v_pk_fma_f16 v51, v44, v12, v70
	;; [unrolled: 1-line block ×5, first 2 shown]
	v_and_b32_e32 v12, 0x300030, v65
	v_or_b32_e32 v12, 0x64006400, v12
	v_pk_fma_f16 v61, v12, s18, v62 op_sel_hi:[1,0,1]
	v_and_b32_e32 v12, 0xc000c0, v65
	v_or_b32_e32 v12, 0x64006400, v12
	v_pk_fma_f16 v63, v12, s19, v63 op_sel_hi:[1,0,1]
	;; [unrolled: 3-line block ×5, first 2 shown]
	v_and_b32_e32 v12, 0xc000c0, v69
	s_waitcnt lgkmcnt(0)
	v_pk_fma_f16 v56, v61, v10, v56
	v_or_b32_e32 v12, 0x64006400, v12
	v_pk_fma_f16 v64, v63, v11, v56
	v_pk_fma_f16 v56, v60, v10, v67
	ds_read2_b32 v[66:67], v73 offset0:64 offset1:65
	v_pk_fma_f16 v52, v12, s19, v80 op_sel_hi:[1,0,1]
	v_and_b32_e32 v12, 0x300030, v72
	v_or_b32_e32 v12, 0x64006400, v12
	v_pk_fma_f16 v12, v12, s18, v81 op_sel_hi:[1,0,1]
	v_and_b32_e32 v51, 0xc000c0, v72
	v_or_b32_e32 v51, 0x64006400, v51
	v_pk_fma_f16 v65, v62, v11, v56
	v_pk_fma_f16 v56, v13, v10, v68
	;; [unrolled: 1-line block ×3, first 2 shown]
	ds_read2_b32 v[68:69], v73 offset0:66 offset1:67
	ds_read2_b32 v[70:71], v73 offset0:68 offset1:69
	;; [unrolled: 1-line block ×3, first 2 shown]
	v_pk_fma_f16 v51, v51, s19, v82 op_sel_hi:[1,0,1]
	s_waitcnt lgkmcnt(3)
	v_pk_fma_f16 v72, v41, v66, 0
	v_pk_fma_f16 v56, v52, v11, v56
	;; [unrolled: 1-line block ×10, first 2 shown]
	s_waitcnt lgkmcnt(2)
	v_pk_fma_f16 v67, v47, v68, v72
	v_pk_fma_f16 v11, v53, v68, v11
	;; [unrolled: 1-line block ×8, first 2 shown]
	s_waitcnt lgkmcnt(1)
	v_pk_fma_f16 v67, v55, v70, v67
	v_pk_fma_f16 v11, v58, v70, v11
	;; [unrolled: 1-line block ×8, first 2 shown]
	ds_read2_b32 v[70:71], v73 offset0:128 offset1:129
	s_waitcnt lgkmcnt(1)
	v_pk_fma_f16 v11, v61, v74, v11
	v_pk_fma_f16 v66, v12, v74, v66
	;; [unrolled: 1-line block ×7, first 2 shown]
	s_waitcnt lgkmcnt(0)
	v_pk_fma_f16 v69, v49, v70, 0
	v_pk_fma_f16 v11, v52, v75, v11
	ds_read2_b32 v[74:75], v73 offset0:130 offset1:131
	ds_read2_b32 v[76:77], v73 offset0:132 offset1:133
	ds_read2_b32 v[78:79], v73 offset0:134 offset1:135
	v_pk_fma_f16 v69, v50, v71, v69
	v_pk_fma_f16 v72, v41, v70, 0
	v_pk_fma_f16 v80, v2, v70, 0
	v_pk_fma_f16 v72, v42, v71, v72
	v_pk_fma_f16 v70, v0, v70, 0
	s_waitcnt lgkmcnt(2)
	v_pk_fma_f16 v69, v53, v74, v69
	v_pk_fma_f16 v80, v3, v71, v80
	v_pk_fma_f16 v70, v1, v71, v70
	v_pk_fma_f16 v69, v54, v75, v69
	v_pk_fma_f16 v71, v47, v74, v72
	v_pk_fma_f16 v72, v39, v74, v80
	v_pk_fma_f16 v71, v48, v75, v71
	s_waitcnt lgkmcnt(1)
	v_pk_fma_f16 v69, v58, v76, v69
	v_pk_fma_f16 v72, v40, v75, v72
	;; [unrolled: 8-line block ×3, first 2 shown]
	v_pk_fma_f16 v75, v46, v77, v71
	v_pk_fma_f16 v71, v63, v79, v69
	;; [unrolled: 1-line block ×6, first 2 shown]
	ds_read2_b32 v[74:75], v73 offset0:192 offset1:193
	v_pk_fma_f16 v70, v45, v77, v70
	v_pk_fma_f16 v69, v52, v79, v69
	;; [unrolled: 1-line block ×3, first 2 shown]
	s_waitcnt lgkmcnt(0)
	v_pk_fma_f16 v82, v41, v74, 0
	v_pk_fma_f16 v70, v51, v79, v70
	ds_read2_b32 v[76:77], v73 offset0:194 offset1:195
	ds_read2_b32 v[78:79], v73 offset0:196 offset1:197
	;; [unrolled: 1-line block ×3, first 2 shown]
	v_pk_fma_f16 v73, v49, v74, 0
	v_pk_fma_f16 v82, v42, v75, v82
	v_pk_fma_f16 v73, v50, v75, v73
	v_pk_fma_f16 v83, v2, v74, 0
	v_pk_fma_f16 v74, v0, v74, 0
	s_waitcnt lgkmcnt(2)
	v_pk_fma_f16 v73, v53, v76, v73
	v_pk_fma_f16 v83, v3, v75, v83
	v_pk_fma_f16 v74, v1, v75, v74
	v_pk_fma_f16 v73, v54, v77, v73
	v_pk_fma_f16 v75, v47, v76, v82
	v_pk_fma_f16 v82, v39, v76, v83
	v_pk_fma_f16 v75, v48, v77, v75
	s_waitcnt lgkmcnt(1)
	v_pk_fma_f16 v73, v58, v78, v73
	v_pk_fma_f16 v82, v40, v77, v82
	;; [unrolled: 8-line block ×3, first 2 shown]
	v_pk_fma_f16 v77, v46, v79, v75
	v_pk_fma_f16 v75, v63, v81, v73
	;; [unrolled: 1-line block ×6, first 2 shown]
	v_mov_b32_e32 v77, s8
	v_pk_fma_f16 v74, v45, v79, v74
	ds_read2_b32 v[78:79], v77 offset1:1
	v_pk_fma_f16 v74, v12, v80, v74
	v_mov_b32_e32 v77, s9
	v_mov_b32_e32 v82, s17
	v_pk_fma_f16 v73, v52, v81, v73
	v_pk_fma_f16 v74, v51, v81, v74
	ds_read2_b32 v[80:81], v77 offset1:1
	ds_read2_b32 v[82:83], v82 offset1:1
	s_waitcnt lgkmcnt(2)
	v_pk_fma_f16 v85, v41, v78, 0
	v_pk_fma_f16 v77, v49, v78, 0
	;; [unrolled: 1-line block ×6, first 2 shown]
	ds_read2_b32 v[84:85], v84 offset1:1
	v_pk_fma_f16 v78, v0, v78, 0
	s_waitcnt lgkmcnt(2)
	v_pk_fma_f16 v77, v53, v80, v77
	v_pk_fma_f16 v78, v1, v79, v78
	;; [unrolled: 1-line block ×6, first 2 shown]
	s_waitcnt lgkmcnt(1)
	v_pk_fma_f16 v77, v58, v82, v77
	v_pk_fma_f16 v86, v40, v81, v86
	;; [unrolled: 1-line block ×7, first 2 shown]
	s_waitcnt lgkmcnt(0)
	v_pk_fma_f16 v77, v61, v84, v77
	v_pk_fma_f16 v78, v38, v81, v78
	;; [unrolled: 1-line block ×5, first 2 shown]
	s_add_i32 s8, s2, 0x500
	v_pk_fma_f16 v78, v43, v82, v78
	v_pk_fma_f16 v80, v62, v85, v77
	;; [unrolled: 1-line block ×3, first 2 shown]
	v_mov_b32_e32 v81, s8
	v_pk_fma_f16 v78, v45, v83, v78
	ds_read2_b32 v[82:83], v81 offset1:1
	v_pk_fma_f16 v78, v12, v84, v78
	s_add_i32 s8, s2, 0x508
	v_pk_fma_f16 v77, v52, v85, v77
	v_pk_fma_f16 v78, v51, v85, v78
	v_mov_b32_e32 v81, s8
	s_waitcnt lgkmcnt(0)
	v_pk_fma_f16 v84, v49, v82, 0
	v_pk_fma_f16 v85, v41, v82, 0
	;; [unrolled: 1-line block ×8, first 2 shown]
	ds_read2_b32 v[82:83], v81 offset1:1
	s_add_i32 s8, s2, 0x510
	v_mov_b32_e32 v81, s8
	s_add_i32 s8, s2, 0x518
	s_waitcnt lgkmcnt(0)
	v_pk_fma_f16 v84, v53, v82, v84
	v_pk_fma_f16 v85, v47, v82, v85
	v_pk_fma_f16 v86, v39, v82, v86
	v_pk_fma_f16 v82, v37, v82, v87
	v_pk_fma_f16 v84, v54, v83, v84
	v_pk_fma_f16 v85, v48, v83, v85
	v_pk_fma_f16 v86, v40, v83, v86
	v_pk_fma_f16 v87, v38, v83, v82
	ds_read2_b32 v[82:83], v81 offset1:1
	v_mov_b32_e32 v81, s8
	s_add_i32 s8, s2, 0x600
	s_waitcnt lgkmcnt(0)
	v_pk_fma_f16 v84, v58, v82, v84
	v_pk_fma_f16 v85, v55, v82, v85
	;; [unrolled: 1-line block ×8, first 2 shown]
	ds_read2_b32 v[82:83], v81 offset1:1
	s_waitcnt lgkmcnt(0)
	v_pk_fma_f16 v81, v61, v82, v84
	s_nop 0
	v_pk_fma_f16 v90, v63, v83, v81
	v_pk_fma_f16 v81, v60, v82, v85
	s_nop 0
	v_pk_fma_f16 v91, v62, v83, v81
	v_pk_fma_f16 v81, v13, v82, v86
	;; [unrolled: 1-line block ×5, first 2 shown]
	v_mov_b32_e32 v83, s8
	ds_read2_b32 v[84:85], v83 offset1:1
	s_add_i32 s8, s2, 0x608
	s_waitcnt lgkmcnt(0)
	v_pk_fma_f16 v83, v49, v84, 0
	v_pk_fma_f16 v86, v41, v84, 0
	v_pk_fma_f16 v87, v2, v84, 0
	v_pk_fma_f16 v84, v0, v84, 0
	v_pk_fma_f16 v83, v50, v85, v83
	v_pk_fma_f16 v88, v1, v85, v84
	v_mov_b32_e32 v84, s8
	v_pk_fma_f16 v86, v42, v85, v86
	v_pk_fma_f16 v87, v3, v85, v87
	ds_read2_b32 v[84:85], v84 offset1:1
	s_add_i32 s8, s2, 0x610
	s_waitcnt lgkmcnt(0)
	v_pk_fma_f16 v83, v53, v84, v83
	v_pk_fma_f16 v86, v47, v84, v86
	v_pk_fma_f16 v87, v39, v84, v87
	v_pk_fma_f16 v84, v37, v84, v88
	v_pk_fma_f16 v83, v54, v85, v83
	v_pk_fma_f16 v88, v38, v85, v84
	v_mov_b32_e32 v84, s8
	v_pk_fma_f16 v86, v48, v85, v86
	v_pk_fma_f16 v87, v40, v85, v87
	;; [unrolled: 12-line block ×3, first 2 shown]
	ds_read2_b32 v[84:85], v84 offset1:1
	s_add_i32 s8, s2, 0x700
	s_waitcnt lgkmcnt(0)
	v_pk_fma_f16 v86, v60, v84, v86
	v_pk_fma_f16 v83, v61, v84, v83
	;; [unrolled: 1-line block ×7, first 2 shown]
	v_mov_b32_e32 v84, s8
	v_pk_fma_f16 v93, v52, v85, v86
	ds_read2_b32 v[84:85], v84 offset1:1
	s_add_i32 s8, s2, 0x708
	s_waitcnt lgkmcnt(0)
	v_pk_fma_f16 v49, v49, v84, 0
	s_nop 0
	v_pk_fma_f16 v49, v50, v85, v49
	v_mov_b32_e32 v50, s8
	ds_read2_b32 v[86:87], v50 offset1:1
	v_pk_fma_f16 v41, v41, v84, 0
	s_add_i32 s8, s2, 0x710
	v_pk_fma_f16 v41, v42, v85, v41
	v_pk_fma_f16 v2, v2, v84, 0
	;; [unrolled: 1-line block ×3, first 2 shown]
	v_mov_b32_e32 v50, s8
	s_waitcnt lgkmcnt(0)
	v_pk_fma_f16 v41, v47, v86, v41
	v_pack_b32_f16 v42, v64, v65
	v_perm_b32 v47, v65, v64, s20
	v_pk_fma_f16 v2, v3, v85, v2
	v_pk_fma_f16 v0, v1, v85, v0
	v_pack_b32_f16 v1, v56, v10
	v_perm_b32 v3, v10, v56, s20
	ds_read2_b32 v[88:89], v50 offset1:1
	v_pk_add_f16 v42, v42, v47
	v_pk_add_f16 v1, v1, v3
	v_pk_fma_f16 v30, v42, v6, v30
	v_pack_b32_f16 v42, v67, v68
	v_perm_b32 v47, v68, v67, s20
	v_pk_fma_f16 v28, v1, v7, v28
	v_pack_b32_f16 v1, v11, v66
	v_perm_b32 v3, v66, v11, s20
	v_pk_add_f16 v42, v42, v47
	v_pk_add_f16 v1, v1, v3
	v_pk_fma_f16 v49, v53, v86, v49
	v_pk_fma_f16 v27, v42, v6, v27
	v_pack_b32_f16 v42, v71, v72
	v_perm_b32 v47, v72, v71, s20
	v_pk_fma_f16 v26, v1, v7, v26
	v_pack_b32_f16 v1, v69, v70
	v_perm_b32 v3, v70, v69, s20
	v_pk_fma_f16 v49, v54, v87, v49
	s_add_i32 s8, s2, 0x718
	v_pk_add_f16 v42, v42, v47
	v_pk_add_f16 v1, v1, v3
	s_waitcnt lgkmcnt(0)
	v_pk_fma_f16 v49, v58, v88, v49
	v_mov_b32_e32 v50, s8
	v_pk_fma_f16 v25, v42, v6, v25
	v_pack_b32_f16 v42, v75, v76
	v_perm_b32 v47, v76, v75, s20
	v_pk_fma_f16 v24, v1, v7, v24
	v_pack_b32_f16 v1, v73, v74
	v_perm_b32 v3, v74, v73, s20
	v_pk_fma_f16 v49, v59, v89, v49
	ds_read2_b32 v[58:59], v50 offset1:1
	v_pk_add_f16 v42, v42, v47
	v_pk_add_f16 v1, v1, v3
	v_pk_fma_f16 v23, v42, v6, v23
	v_pack_b32_f16 v42, v79, v80
	v_perm_b32 v47, v80, v79, s20
	v_pk_fma_f16 v2, v39, v86, v2
	v_pk_fma_f16 v0, v37, v86, v0
	;; [unrolled: 1-line block ×3, first 2 shown]
	v_pack_b32_f16 v1, v77, v78
	v_perm_b32 v3, v78, v77, s20
	v_pk_fma_f16 v41, v48, v87, v41
	v_pk_add_f16 v42, v42, v47
	v_pk_fma_f16 v2, v40, v87, v2
	v_pk_fma_f16 v0, v38, v87, v0
	v_pk_add_f16 v1, v1, v3
	v_pk_fma_f16 v41, v55, v88, v41
	v_pk_fma_f16 v21, v42, v6, v21
	v_pack_b32_f16 v42, v90, v91
	v_perm_b32 v47, v91, v90, s20
	v_pk_fma_f16 v2, v44, v88, v2
	v_pk_fma_f16 v0, v43, v88, v0
	;; [unrolled: 1-line block ×3, first 2 shown]
	v_pack_b32_f16 v1, v81, v82
	v_perm_b32 v3, v82, v81, s20
	v_pk_fma_f16 v41, v57, v89, v41
	v_pk_add_f16 v42, v42, v47
	v_pk_fma_f16 v2, v46, v89, v2
	v_pk_fma_f16 v0, v45, v89, v0
	v_pk_add_f16 v1, v1, v3
	s_waitcnt lgkmcnt(0)
	v_pk_fma_f16 v49, v61, v58, v49
	v_pk_fma_f16 v41, v60, v58, v41
	;; [unrolled: 1-line block ×3, first 2 shown]
	v_pack_b32_f16 v42, v83, v92
	v_perm_b32 v47, v92, v83, s20
	v_pk_fma_f16 v2, v13, v58, v2
	v_pk_fma_f16 v0, v12, v58, v0
	;; [unrolled: 1-line block ×3, first 2 shown]
	v_pack_b32_f16 v1, v93, v94
	v_perm_b32 v3, v94, v93, s20
	v_pk_fma_f16 v49, v63, v59, v49
	v_pk_fma_f16 v41, v62, v59, v41
	v_pk_add_f16 v42, v42, v47
	v_pk_fma_f16 v2, v52, v59, v2
	v_pk_fma_f16 v0, v51, v59, v0
	v_pk_add_f16 v1, v1, v3
	v_pk_fma_f16 v17, v42, v6, v17
	v_pack_b32_f16 v42, v49, v41
	v_perm_b32 v41, v41, v49, s20
	v_pk_fma_f16 v16, v1, v7, v16
	v_pack_b32_f16 v1, v2, v0
	v_perm_b32 v0, v0, v2, s20
	v_pk_add_f16 v41, v42, v41
	v_pk_add_f16 v0, v1, v0
	s_add_i32 s2, s2, 32
	v_pk_fma_f16 v15, v41, v6, v15
	v_pk_fma_f16 v14, v0, v7, v14
	s_cmp_ge_i32 s24, s25
	s_cbranch_scc1 .LBB43_24
.LBB43_22:                              ; =>This Inner Loop Header: Depth=1
	s_cmp_lg_u32 s24, s21
	s_cbranch_scc1 .LBB43_21
; %bb.23:                               ;   in Loop: Header=BB43_22 Depth=1
	s_add_i32 s5, s5, 1
	s_mul_i32 s8, s5, s16
	s_ashr_i32 s9, s8, 31
	s_lshr_b32 s9, s9, 28
	s_add_i32 s9, s8, s9
	s_ashr_i32 s9, s9, 4
	v_add_u32_e32 v0, s9, v29
	v_ashrrev_i32_e32 v1, 31, v0
	v_lshl_add_u64 v[0:1], v[0:1], 2, s[10:11]
	global_load_dword v2, v[0:1], off
	v_add_u32_e32 v0, s8, v4
	v_ashrrev_i32_e32 v1, 31, v0
	v_lshl_add_u64 v[0:1], v[0:1], 1, s[12:13]
	global_load_dwordx2 v[6:7], v[0:1], off
	s_add_i32 s21, s21, s4
	s_waitcnt vmcnt(1)
	v_lshrrev_b32_e32 v0, v32, v2
	v_bfe_u32 v5, v2, v32, 2
	v_bfe_u32 v34, v0, 2, 2
	;; [unrolled: 1-line block ×4, first 2 shown]
	s_branch .LBB43_21
.LBB43_24:
	s_mul_i32 s3, s3, s16
	v_add_u32_e32 v0, s3, v4
	v_ashrrev_i32_e32 v1, 31, v0
	v_lshl_add_u64 v[2:3], v[0:1], 1, s[14:15]
	global_load_dword v5, v[2:3], off
	s_mov_b64 s[0:1], 0
.LBB43_25:                              ; =>This Inner Loop Header: Depth=1
	s_waitcnt vmcnt(0)
	v_pk_add_f16 v4, v30, v5
	global_atomic_cmpswap v1, v[2:3], v[4:5], off sc0
	s_waitcnt vmcnt(0)
	v_cmp_eq_u32_e32 vcc, v5, v1
	s_or_b64 s[0:1], vcc, s[0:1]
	v_mov_b32_e32 v5, v1
	s_andn2_b64 exec, exec, s[0:1]
	s_cbranch_execnz .LBB43_25
; %bb.26:
	s_or_b64 exec, exec, s[0:1]
	global_load_dword v5, v[2:3], off offset:4
	s_mov_b64 s[0:1], 0
.LBB43_27:                              ; =>This Inner Loop Header: Depth=1
	s_waitcnt vmcnt(0)
	v_pk_add_f16 v4, v28, v5
	global_atomic_cmpswap v1, v[2:3], v[4:5], off offset:4 sc0
	s_waitcnt vmcnt(0)
	v_cmp_eq_u32_e32 vcc, v5, v1
	s_or_b64 s[0:1], vcc, s[0:1]
	v_mov_b32_e32 v5, v1
	s_andn2_b64 exec, exec, s[0:1]
	s_cbranch_execnz .LBB43_27
; %bb.28:
	s_or_b64 exec, exec, s[0:1]
	v_add_u32_e32 v0, s16, v0
	v_ashrrev_i32_e32 v1, 31, v0
	v_lshl_add_u64 v[2:3], v[0:1], 1, s[14:15]
	global_load_dword v5, v[2:3], off
	s_mov_b64 s[0:1], 0
.LBB43_29:                              ; =>This Inner Loop Header: Depth=1
	s_waitcnt vmcnt(0)
	v_pk_add_f16 v4, v27, v5
	global_atomic_cmpswap v1, v[2:3], v[4:5], off sc0
	s_waitcnt vmcnt(0)
	v_cmp_eq_u32_e32 vcc, v5, v1
	s_or_b64 s[0:1], vcc, s[0:1]
	v_mov_b32_e32 v5, v1
	s_andn2_b64 exec, exec, s[0:1]
	s_cbranch_execnz .LBB43_29
; %bb.30:
	s_or_b64 exec, exec, s[0:1]
	global_load_dword v5, v[2:3], off offset:4
	s_mov_b64 s[0:1], 0
.LBB43_31:                              ; =>This Inner Loop Header: Depth=1
	s_waitcnt vmcnt(0)
	v_pk_add_f16 v4, v26, v5
	global_atomic_cmpswap v1, v[2:3], v[4:5], off offset:4 sc0
	s_waitcnt vmcnt(0)
	v_cmp_eq_u32_e32 vcc, v5, v1
	s_or_b64 s[0:1], vcc, s[0:1]
	v_mov_b32_e32 v5, v1
	s_andn2_b64 exec, exec, s[0:1]
	s_cbranch_execnz .LBB43_31
; %bb.32:
	s_or_b64 exec, exec, s[0:1]
	;; [unrolled: 31-line block ×7, first 2 shown]
	v_add_u32_e32 v0, s16, v0
	v_ashrrev_i32_e32 v1, 31, v0
	v_lshl_add_u64 v[0:1], v[0:1], 1, s[14:15]
	global_load_dword v3, v[0:1], off
	s_mov_b64 s[0:1], 0
.LBB43_53:                              ; =>This Inner Loop Header: Depth=1
	s_waitcnt vmcnt(0)
	v_pk_add_f16 v2, v15, v3
	global_atomic_cmpswap v2, v[0:1], v[2:3], off sc0
	s_waitcnt vmcnt(0)
	v_cmp_eq_u32_e32 vcc, v3, v2
	s_or_b64 s[0:1], vcc, s[0:1]
	v_mov_b32_e32 v3, v2
	s_andn2_b64 exec, exec, s[0:1]
	s_cbranch_execnz .LBB43_53
; %bb.54:
	s_or_b64 exec, exec, s[0:1]
	global_load_dword v3, v[0:1], off offset:4
	s_mov_b64 s[0:1], 0
.LBB43_55:                              ; =>This Inner Loop Header: Depth=1
	s_waitcnt vmcnt(0)
	v_pk_add_f16 v2, v14, v3
	global_atomic_cmpswap v2, v[0:1], v[2:3], off offset:4 sc0
	s_waitcnt vmcnt(0)
	v_cmp_eq_u32_e32 vcc, v3, v2
	s_or_b64 s[0:1], vcc, s[0:1]
	v_mov_b32_e32 v3, v2
	s_andn2_b64 exec, exec, s[0:1]
	s_cbranch_execnz .LBB43_55
.LBB43_56:
	s_endpgm
	.section	.rodata,"a",@progbits
	.p2align	6, 0x0
	.amdhsa_kernel _ZN4vllm4gptq33gemm_half_q_half_gptq_2bit_kernelILb1ELi8EEEvPK6__halfPKjS6_S4_PS2_iiiibPKi
		.amdhsa_group_segment_fixed_size 2048
		.amdhsa_private_segment_fixed_size 0
		.amdhsa_kernarg_size 72
		.amdhsa_user_sgpr_count 2
		.amdhsa_user_sgpr_dispatch_ptr 0
		.amdhsa_user_sgpr_queue_ptr 0
		.amdhsa_user_sgpr_kernarg_segment_ptr 1
		.amdhsa_user_sgpr_dispatch_id 0
		.amdhsa_user_sgpr_kernarg_preload_length 0
		.amdhsa_user_sgpr_kernarg_preload_offset 0
		.amdhsa_user_sgpr_private_segment_size 0
		.amdhsa_uses_dynamic_stack 0
		.amdhsa_enable_private_segment 0
		.amdhsa_system_sgpr_workgroup_id_x 1
		.amdhsa_system_sgpr_workgroup_id_y 1
		.amdhsa_system_sgpr_workgroup_id_z 1
		.amdhsa_system_sgpr_workgroup_info 0
		.amdhsa_system_vgpr_workitem_id 0
		.amdhsa_next_free_vgpr 95
		.amdhsa_next_free_sgpr 26
		.amdhsa_accum_offset 96
		.amdhsa_reserve_vcc 1
		.amdhsa_float_round_mode_32 0
		.amdhsa_float_round_mode_16_64 0
		.amdhsa_float_denorm_mode_32 3
		.amdhsa_float_denorm_mode_16_64 3
		.amdhsa_dx10_clamp 1
		.amdhsa_ieee_mode 1
		.amdhsa_fp16_overflow 0
		.amdhsa_tg_split 0
		.amdhsa_exception_fp_ieee_invalid_op 0
		.amdhsa_exception_fp_denorm_src 0
		.amdhsa_exception_fp_ieee_div_zero 0
		.amdhsa_exception_fp_ieee_overflow 0
		.amdhsa_exception_fp_ieee_underflow 0
		.amdhsa_exception_fp_ieee_inexact 0
		.amdhsa_exception_int_div_zero 0
	.end_amdhsa_kernel
	.section	.text._ZN4vllm4gptq33gemm_half_q_half_gptq_2bit_kernelILb1ELi8EEEvPK6__halfPKjS6_S4_PS2_iiiibPKi,"axG",@progbits,_ZN4vllm4gptq33gemm_half_q_half_gptq_2bit_kernelILb1ELi8EEEvPK6__halfPKjS6_S4_PS2_iiiibPKi,comdat
.Lfunc_end43:
	.size	_ZN4vllm4gptq33gemm_half_q_half_gptq_2bit_kernelILb1ELi8EEEvPK6__halfPKjS6_S4_PS2_iiiibPKi, .Lfunc_end43-_ZN4vllm4gptq33gemm_half_q_half_gptq_2bit_kernelILb1ELi8EEEvPK6__halfPKjS6_S4_PS2_iiiibPKi
                                        ; -- End function
	.set _ZN4vllm4gptq33gemm_half_q_half_gptq_2bit_kernelILb1ELi8EEEvPK6__halfPKjS6_S4_PS2_iiiibPKi.num_vgpr, 95
	.set _ZN4vllm4gptq33gemm_half_q_half_gptq_2bit_kernelILb1ELi8EEEvPK6__halfPKjS6_S4_PS2_iiiibPKi.num_agpr, 0
	.set _ZN4vllm4gptq33gemm_half_q_half_gptq_2bit_kernelILb1ELi8EEEvPK6__halfPKjS6_S4_PS2_iiiibPKi.numbered_sgpr, 26
	.set _ZN4vllm4gptq33gemm_half_q_half_gptq_2bit_kernelILb1ELi8EEEvPK6__halfPKjS6_S4_PS2_iiiibPKi.num_named_barrier, 0
	.set _ZN4vllm4gptq33gemm_half_q_half_gptq_2bit_kernelILb1ELi8EEEvPK6__halfPKjS6_S4_PS2_iiiibPKi.private_seg_size, 0
	.set _ZN4vllm4gptq33gemm_half_q_half_gptq_2bit_kernelILb1ELi8EEEvPK6__halfPKjS6_S4_PS2_iiiibPKi.uses_vcc, 1
	.set _ZN4vllm4gptq33gemm_half_q_half_gptq_2bit_kernelILb1ELi8EEEvPK6__halfPKjS6_S4_PS2_iiiibPKi.uses_flat_scratch, 0
	.set _ZN4vllm4gptq33gemm_half_q_half_gptq_2bit_kernelILb1ELi8EEEvPK6__halfPKjS6_S4_PS2_iiiibPKi.has_dyn_sized_stack, 0
	.set _ZN4vllm4gptq33gemm_half_q_half_gptq_2bit_kernelILb1ELi8EEEvPK6__halfPKjS6_S4_PS2_iiiibPKi.has_recursion, 0
	.set _ZN4vllm4gptq33gemm_half_q_half_gptq_2bit_kernelILb1ELi8EEEvPK6__halfPKjS6_S4_PS2_iiiibPKi.has_indirect_call, 0
	.section	.AMDGPU.csdata,"",@progbits
; Kernel info:
; codeLenInByte = 6856
; TotalNumSgprs: 32
; NumVgprs: 95
; NumAgprs: 0
; TotalNumVgprs: 95
; ScratchSize: 0
; MemoryBound: 0
; FloatMode: 240
; IeeeMode: 1
; LDSByteSize: 2048 bytes/workgroup (compile time only)
; SGPRBlocks: 3
; VGPRBlocks: 11
; NumSGPRsForWavesPerEU: 32
; NumVGPRsForWavesPerEU: 95
; AccumOffset: 96
; Occupancy: 5
; WaveLimiterHint : 0
; COMPUTE_PGM_RSRC2:SCRATCH_EN: 0
; COMPUTE_PGM_RSRC2:USER_SGPR: 2
; COMPUTE_PGM_RSRC2:TRAP_HANDLER: 0
; COMPUTE_PGM_RSRC2:TGID_X_EN: 1
; COMPUTE_PGM_RSRC2:TGID_Y_EN: 1
; COMPUTE_PGM_RSRC2:TGID_Z_EN: 1
; COMPUTE_PGM_RSRC2:TIDIG_COMP_CNT: 0
; COMPUTE_PGM_RSRC3_GFX90A:ACCUM_OFFSET: 23
; COMPUTE_PGM_RSRC3_GFX90A:TG_SPLIT: 0
	.section	.text._ZN4vllm4gptq33gemm_half_q_half_gptq_3bit_kernelILb1ELi8EEEvPK6__halfPKjS6_S4_PS2_iiiibPKi,"axG",@progbits,_ZN4vllm4gptq33gemm_half_q_half_gptq_3bit_kernelILb1ELi8EEEvPK6__halfPKjS6_S4_PS2_iiiibPKi,comdat
	.protected	_ZN4vllm4gptq33gemm_half_q_half_gptq_3bit_kernelILb1ELi8EEEvPK6__halfPKjS6_S4_PS2_iiiibPKi ; -- Begin function _ZN4vllm4gptq33gemm_half_q_half_gptq_3bit_kernelILb1ELi8EEEvPK6__halfPKjS6_S4_PS2_iiiibPKi
	.globl	_ZN4vllm4gptq33gemm_half_q_half_gptq_3bit_kernelILb1ELi8EEEvPK6__halfPKjS6_S4_PS2_iiiibPKi
	.p2align	8
	.type	_ZN4vllm4gptq33gemm_half_q_half_gptq_3bit_kernelILb1ELi8EEEvPK6__halfPKjS6_S4_PS2_iiiibPKi,@function
_ZN4vllm4gptq33gemm_half_q_half_gptq_3bit_kernelILb1ELi8EEEvPK6__halfPKjS6_S4_PS2_iiiibPKi: ; @_ZN4vllm4gptq33gemm_half_q_half_gptq_3bit_kernelILb1ELi8EEEvPK6__halfPKjS6_S4_PS2_iiiibPKi
; %bb.0:
	s_load_dwordx8 s[8:15], s[0:1], 0x8
	s_load_dwordx4 s[16:19], s[0:1], 0x2c
	s_lshl_b32 s27, s4, 7
	s_lshl_b32 s26, s3, 3
	s_add_i32 s3, s27, 0x80
	v_cvt_f64_u32_e32 v[2:3], s3
	s_waitcnt lgkmcnt(0)
	v_cvt_f64_i32_e32 v[4:5], s17
	v_min_f64 v[2:3], v[2:3], v[4:5]
	v_cvt_i32_f64_e32 v1, v[2:3]
	v_add_u32_e32 v2, s27, v0
	v_readfirstlane_b32 s28, v1
	v_cmp_lt_u32_e32 vcc, v2, v1
	s_and_saveexec_b64 s[4:5], vcc
	s_cbranch_execz .LBB44_18
; %bb.1:
	s_load_dwordx2 s[22:23], s[0:1], 0x40
	s_load_dwordx2 s[6:7], s[0:1], 0x0
	v_mov_b32_e32 v3, 0
	v_mov_b64_e32 v[6:7], v[2:3]
	s_waitcnt lgkmcnt(0)
	s_cmp_lg_u64 s[22:23], 0
	s_cselect_b64 s[20:21], -1, 0
	s_cmp_eq_u64 s[22:23], 0
	v_lshl_add_u64 v[4:5], v[2:3], 2, s[22:23]
	s_cbranch_scc1 .LBB44_3
; %bb.2:
	global_load_dword v6, v[4:5], off
	s_waitcnt vmcnt(0)
	v_ashrrev_i32_e32 v7, 31, v6
.LBB44_3:
	s_mul_i32 s22, s26, s17
	s_ashr_i32 s23, s22, 31
	s_lshl_b64 s[0:1], s[22:23], 1
	s_add_u32 s0, s6, s0
	s_addc_u32 s1, s7, s1
	v_lshl_add_u64 v[6:7], v[6:7], 1, s[0:1]
	global_load_ushort v6, v[6:7], off
	v_lshlrev_b32_e32 v1, 1, v0
	v_cndmask_b32_e64 v7, 0, 1, s[20:21]
	v_cmp_ne_u32_e64 s[0:1], 1, v7
	s_andn2_b64 vcc, exec, s[20:21]
	s_waitcnt vmcnt(0)
	ds_write_b16 v1, v6
	v_mov_b64_e32 v[6:7], v[2:3]
	s_cbranch_vccnz .LBB44_5
; %bb.4:
	global_load_dword v6, v[4:5], off
	s_waitcnt vmcnt(0)
	v_ashrrev_i32_e32 v7, 31, v6
.LBB44_5:
	s_add_i32 s20, s22, s17
	s_ashr_i32 s21, s20, 31
	s_lshl_b64 s[22:23], s[20:21], 1
	s_add_u32 s22, s6, s22
	s_addc_u32 s23, s7, s23
	v_lshl_add_u64 v[6:7], v[6:7], 1, s[22:23]
	global_load_ushort v6, v[6:7], off
	s_and_b64 vcc, exec, s[0:1]
	s_waitcnt vmcnt(0)
	ds_write_b16 v1, v6 offset:256
	v_mov_b64_e32 v[6:7], v[2:3]
	s_cbranch_vccnz .LBB44_7
; %bb.6:
	global_load_dword v6, v[4:5], off
	s_waitcnt vmcnt(0)
	v_ashrrev_i32_e32 v7, 31, v6
.LBB44_7:
	s_add_i32 s20, s20, s17
	s_ashr_i32 s21, s20, 31
	s_lshl_b64 s[22:23], s[20:21], 1
	s_add_u32 s22, s6, s22
	s_addc_u32 s23, s7, s23
	v_lshl_add_u64 v[6:7], v[6:7], 1, s[22:23]
	global_load_ushort v6, v[6:7], off
	s_and_b64 vcc, exec, s[0:1]
	s_waitcnt vmcnt(0)
	ds_write_b16 v1, v6 offset:512
	;; [unrolled: 17-line block ×6, first 2 shown]
	s_cbranch_vccnz .LBB44_17
; %bb.16:
	global_load_dword v2, v[4:5], off
	s_waitcnt vmcnt(0)
	v_ashrrev_i32_e32 v3, 31, v2
.LBB44_17:
	s_add_i32 s0, s20, s17
	s_ashr_i32 s1, s0, 31
	s_lshl_b64 s[0:1], s[0:1], 1
	s_add_u32 s0, s6, s0
	s_addc_u32 s1, s7, s1
	v_lshl_add_u64 v[2:3], v[2:3], 1, s[0:1]
	global_load_ushort v2, v[2:3], off
	s_waitcnt vmcnt(0)
	ds_write_b16 v1, v2 offset:1792
.LBB44_18:
	s_or_b64 exec, exec, s[4:5]
	v_lshlrev_b32_e32 v0, 2, v0
	v_lshl_add_u32 v4, s2, 9, v0
	v_mov_b32_e32 v2, v4
	v_cmp_gt_i32_e32 vcc, s16, v4
	scratch_store_dwordx2 off, v[2:3], off offset:16 ; 8-byte Folded Spill
	s_and_saveexec_b64 s[0:1], vcc
	s_cbranch_execz .LBB44_88
; %bb.19:
	s_abs_i32 s0, s18
	v_cvt_f32_u32_e32 v1, s0
	s_sub_i32 s3, 0, s0
	s_abs_i32 s2, s17
	s_xor_b32 s1, s17, s18
	v_rcp_iflag_f32_e32 v1, v1
	s_ashr_i32 s1, s1, 31
	v_and_b32_e32 v2, 28, v0
	v_cmp_lt_u32_e32 vcc, 4, v2
	v_mul_f32_e32 v1, 0x4f7ffffe, v1
	v_cvt_u32_f32_e32 v1, v1
	s_waitcnt lgkmcnt(0)
	s_barrier
	v_readfirstlane_b32 s4, v1
	s_mul_i32 s3, s3, s4
	s_mul_hi_u32 s3, s4, s3
	s_add_i32 s4, s4, s3
	s_mul_hi_u32 s3, s2, s4
	s_mul_i32 s4, s3, s0
	s_sub_i32 s2, s2, s4
	s_add_i32 s5, s3, 1
	s_sub_i32 s4, s2, s0
	s_cmp_ge_u32 s2, s0
	s_cselect_b32 s3, s5, s3
	s_cselect_b32 s2, s4, s2
	s_add_i32 s4, s3, 1
	s_cmp_ge_u32 s2, s0
	s_cselect_b32 s0, s4, s3
	s_xor_b32 s0, s0, s1
	s_sub_i32 s29, s0, s1
	v_cvt_f32_u32_e32 v1, s29
	s_sub_i32 s0, 0, s29
                                        ; implicit-def: $vgpr3
                                        ; implicit-def: $vgpr0
	v_rcp_iflag_f32_e32 v1, v1
	s_nop 0
	v_mul_f32_e32 v1, 0x4f7ffffe, v1
	v_cvt_u32_f32_e32 v1, v1
	s_nop 0
	v_readfirstlane_b32 s1, v1
	s_mul_i32 s0, s0, s1
	s_mul_hi_u32 s0, s1, s0
	s_add_i32 s1, s1, s0
	s_mul_hi_u32 s0, s27, s1
	s_mul_i32 s1, s0, s29
	s_sub_i32 s1, s27, s1
	s_add_i32 s2, s0, 1
	s_sub_i32 s3, s1, s29
	s_cmp_ge_u32 s1, s29
	s_cselect_b32 s0, s2, s0
	s_cselect_b32 s1, s3, s1
	s_add_i32 s2, s0, 1
	s_cmp_ge_u32 s1, s29
	s_cselect_b32 s30, s2, s0
	s_and_saveexec_b64 s[0:1], vcc
	s_xor_b64 s[2:3], exec, s[0:1]
	s_cbranch_execz .LBB44_33
; %bb.20:
	v_cmp_ne_u32_e64 s[0:1], 8, v2
                                        ; implicit-def: $vgpr3
                                        ; implicit-def: $vgpr0
	s_and_saveexec_b64 s[4:5], s[0:1]
	s_xor_b64 s[4:5], exec, s[4:5]
	s_cbranch_execz .LBB44_30
; %bb.21:
	v_cmp_lt_u32_e64 s[0:1], 16, v2
                                        ; implicit-def: $vgpr3
                                        ; implicit-def: $vgpr0
	s_and_saveexec_b64 s[6:7], s[0:1]
	s_xor_b64 s[6:7], exec, s[6:7]
	s_cbranch_execz .LBB44_27
; %bb.22:
	scratch_load_dwordx2 v[0:1], off, off offset:16 ; 8-byte Folded Reload
	s_mul_i32 s17, s30, s16
	s_ashr_i32 s0, s17, 31
	s_lshr_b32 s0, s0, 27
	s_add_i32 s0, s17, s0
	s_ashr_i32 s0, s0, 5
                                        ; implicit-def: $vgpr3
	s_waitcnt vmcnt(0)
	v_lshl_add_u32 v0, v0, 1, v0
	v_ashrrev_i32_e32 v1, 31, v0
	v_lshrrev_b32_e32 v1, 27, v1
	v_add_u32_e32 v0, v0, v1
	v_ashrrev_i32_e32 v0, 5, v0
	v_mad_u64_u32 v[0:1], s[0:1], s0, 3, v[0:1]
	v_ashrrev_i32_e32 v1, 31, v0
	v_lshl_add_u64 v[0:1], v[0:1], 2, s[10:11]
	global_load_dword v4, v[0:1], off
	v_cmp_ne_u32_e64 s[0:1], 20, v2
	s_and_saveexec_b64 s[20:21], s[0:1]
	s_xor_b64 s[0:1], exec, s[20:21]
	s_cbranch_execz .LBB44_24
; %bb.23:
	v_not_b32_e32 v0, 63
	v_mad_u32_u24 v0, v2, 3, v0
	s_waitcnt vmcnt(0)
	v_lshrrev_b32_e32 v3, v0, v4
                                        ; implicit-def: $vgpr0_vgpr1
                                        ; implicit-def: $vgpr4
.LBB44_24:
	s_andn2_saveexec_b64 s[0:1], s[0:1]
	s_cbranch_execz .LBB44_26
; %bb.25:
	global_load_dword v0, v[0:1], off offset:4
	s_waitcnt vmcnt(0)
	v_alignbit_b32 v0, v0, v4, 28
	v_and_b32_e32 v3, 0xfff, v0
.LBB44_26:
	s_or_b64 exec, exec, s[0:1]
	v_mov_b32_e32 v0, s17
.LBB44_27:
	s_andn2_saveexec_b64 s[0:1], s[6:7]
	s_cbranch_execz .LBB44_29
; %bb.28:
	scratch_load_dwordx2 v[0:1], off, off offset:16 ; 8-byte Folded Reload
	s_mul_i32 s17, s30, s16
	s_ashr_i32 s6, s17, 31
	s_lshr_b32 s6, s6, 27
	s_add_i32 s6, s17, s6
	s_ashr_i32 s6, s6, 5
	s_waitcnt vmcnt(0)
	v_lshl_add_u32 v0, v0, 1, v0
	v_ashrrev_i32_e32 v1, 31, v0
	v_lshrrev_b32_e32 v1, 27, v1
	v_add_u32_e32 v0, v0, v1
	v_ashrrev_i32_e32 v0, 5, v0
	v_mad_u64_u32 v[0:1], s[6:7], s6, 3, v[0:1]
	v_ashrrev_i32_e32 v1, 31, v0
	v_lshl_add_u64 v[0:1], v[0:1], 2, s[10:11]
	global_load_dword v0, v[0:1], off
	v_not_b32_e32 v1, 31
	v_mad_u32_u24 v1, v2, 3, v1
	s_waitcnt vmcnt(0)
	v_lshrrev_b32_e32 v3, v1, v0
	v_mov_b32_e32 v0, s17
.LBB44_29:
	s_or_b64 exec, exec, s[0:1]
.LBB44_30:
	s_andn2_saveexec_b64 s[0:1], s[4:5]
	s_cbranch_execz .LBB44_32
; %bb.31:
	scratch_load_dwordx2 v[0:1], off, off offset:16 ; 8-byte Folded Reload
	s_mul_i32 s6, s30, s16
	s_ashr_i32 s4, s6, 31
	s_lshr_b32 s4, s4, 27
	s_add_i32 s4, s6, s4
	s_ashr_i32 s4, s4, 5
	s_waitcnt vmcnt(0)
	v_lshl_add_u32 v0, v0, 1, v0
	v_ashrrev_i32_e32 v1, 31, v0
	v_lshrrev_b32_e32 v1, 27, v1
	v_add_u32_e32 v0, v0, v1
	v_ashrrev_i32_e32 v0, 5, v0
	v_mad_u64_u32 v[0:1], s[4:5], s4, 3, v[0:1]
	v_ashrrev_i32_e32 v1, 31, v0
	v_lshl_add_u64 v[0:1], v[0:1], 2, s[10:11]
	global_load_dwordx2 v[0:1], v[0:1], off
	s_mov_b32 s4, 0x2010007
	s_waitcnt vmcnt(0)
	v_perm_b32 v0, v0, v1, s4
	v_and_b32_e32 v3, 0xfff, v0
	v_mov_b32_e32 v0, s6
.LBB44_32:
	s_or_b64 exec, exec, s[0:1]
.LBB44_33:
	s_or_saveexec_b64 s[0:1], s[2:3]
	scratch_load_dwordx2 v[4:5], off, off offset:16 ; 8-byte Folded Reload
	s_waitcnt vmcnt(0)
	v_mul_u32_u24_e32 v5, 3, v2
	scratch_store_dword off, v5, off offset:32 ; 4-byte Folded Spill
	v_lshl_add_u32 v1, v4, 1, v4
	v_ashrrev_i32_e32 v4, 31, v1
	s_xor_b64 exec, exec, s[0:1]
	s_cbranch_execz .LBB44_35
; %bb.34:
	s_mul_i32 s4, s30, s16
	s_ashr_i32 s2, s4, 31
	s_lshr_b32 s2, s2, 27
	v_lshrrev_b32_e32 v0, 27, v4
	s_add_i32 s2, s4, s2
	v_add_u32_e32 v0, v1, v0
	s_ashr_i32 s2, s2, 5
	v_ashrrev_i32_e32 v0, 5, v0
	v_mad_u64_u32 v[6:7], s[2:3], s2, 3, v[0:1]
	v_ashrrev_i32_e32 v7, 31, v6
	v_lshl_add_u64 v[6:7], v[6:7], 2, s[10:11]
	global_load_dword v0, v[6:7], off
	v_mul_u32_u24_e32 v3, 3, v2
	s_waitcnt vmcnt(0)
	v_lshrrev_b32_e32 v3, v3, v0
	v_mov_b32_e32 v0, s4
.LBB44_35:
	s_or_b64 exec, exec, s[0:1]
	s_mov_b32 s31, 0
	v_mov_b32_e32 v38, 0
	s_cmp_ge_i32 s27, s28
	v_mov_b32_e32 v37, 0
	v_mov_b32_e32 v36, 0
	;; [unrolled: 1-line block ×15, first 2 shown]
	s_cbranch_scc1 .LBB44_56
; %bb.36:
	scratch_load_dwordx2 v[6:7], off, off offset:16 ; 8-byte Folded Reload
	s_lshr_b32 s0, s27, 5
	s_mul_i32 s0, s0, s16
	s_mul_i32 s6, s0, 3
	s_add_i32 s33, s29, s27
	s_ashr_i32 s7, s6, 31
	s_bitcmp1_b32 s19, 0
	s_cselect_b64 s[0:1], -1, 0
	s_xor_b64 s[0:1], s[0:1], -1
	s_ashr_i32 s17, s16, 31
	s_lshl_b64 s[6:7], s[6:7], 2
	s_add_u32 s6, s8, s6
	s_addc_u32 s7, s9, s7
	v_cndmask_b32_e64 v39, 0, 1, s[0:1]
	v_cmp_ne_u32_e64 s[0:1], 8, v2
	v_cmp_lt_u32_e64 s[2:3], 16, v2
	v_cmp_ne_u32_e64 s[4:5], 20, v2
	s_lshl_b64 s[8:9], s[16:17], 2
	v_mov_b32_e32 v13, 0
	s_mov_b32 s17, 0x2010007
	s_mov_b32 s34, 0x10001
	;; [unrolled: 1-line block ×3, first 2 shown]
	s_movk_i32 s36, 0x3000
	s_movk_i32 s37, 0x2400
	s_mov_b32 s38, 0x7060302
	v_mov_b32_e32 v42, 0xe400e400
	v_mov_b32_e32 v15, 0
	v_mov_b32_e32 v24, 0
	v_mov_b32_e32 v25, 0
	v_mov_b32_e32 v26, 0
	v_mov_b32_e32 v27, 0
	v_mov_b32_e32 v28, 0
	v_mov_b32_e32 v29, 0
	v_mov_b32_e32 v30, 0
	v_mov_b32_e32 v31, 0
	v_mov_b32_e32 v32, 0
	v_mov_b32_e32 v33, 0
	v_mov_b32_e32 v34, 0
	v_mov_b32_e32 v36, 0
	v_mov_b32_e32 v37, 0
	v_mov_b32_e32 v38, 0
	s_waitcnt vmcnt(0)
	v_mov_b32_e32 v8, v6
	v_add_u32_e32 v6, v0, v8
	v_ashrrev_i32_e32 v7, 31, v6
	v_lshl_add_u64 v[6:7], v[6:7], 1, s[12:13]
	global_load_dwordx2 v[18:19], v[6:7], off
	v_bfe_u32 v0, v3, 9, 3
	scratch_store_dword off, v0, off        ; 4-byte Folded Spill
	v_bfe_u32 v0, v3, 6, 3
	scratch_store_dword off, v0, off offset:4 ; 4-byte Folded Spill
	v_bfe_u32 v0, v3, 3, 3
	scratch_store_dword off, v0, off offset:8 ; 4-byte Folded Spill
	v_and_b32_e32 v0, 7, v3
	scratch_store_dword off, v0, off offset:12 ; 4-byte Folded Spill
	v_lshrrev_b32_e32 v0, 27, v4
	v_add_u32_e32 v0, v1, v0
	v_ashrrev_i32_e32 v0, 5, v0
	scratch_store_dwordx2 off, v[0:1], off offset:24 ; 8-byte Folded Spill
	v_not_b32_e32 v0, 63
	v_mad_u32_u24 v0, v2, 3, v0
	scratch_store_dword off, v0, off offset:40 ; 4-byte Folded Spill
	v_not_b32_e32 v0, 31
	v_ashrrev_i32_e32 v9, 31, v8
	v_mad_u32_u24 v0, v2, 3, v0
	scratch_store_dword off, v0, off offset:36 ; 4-byte Folded Spill
	v_mov_b32_e32 v0, v8
	v_lshl_add_u64 v[16:17], v[8:9], 2, s[6:7]
	s_mul_hi_i32 s7, s16, 12
	s_mul_i32 s6, s16, 12
	scratch_store_dwordx2 off, v[0:1], off offset:16 ; 8-byte Folded Spill
	s_branch .LBB44_39
.LBB44_37:                              ;   in Loop: Header=BB44_39 Depth=1
	s_or_b64 exec, exec, s[18:19]
	scratch_load_dwordx2 v[0:1], off, off offset:16 ; 8-byte Folded Reload
	s_add_i32 s33, s33, s29
	s_waitcnt vmcnt(0)
	v_add_u32_e32 v0, s39, v0
	v_ashrrev_i32_e32 v1, 31, v0
	v_lshl_add_u64 v[0:1], v[0:1], 1, s[12:13]
	global_load_dwordx2 v[18:19], v[0:1], off
	v_and_b32_e32 v0, 7, v2
	scratch_store_dword off, v0, off offset:12 ; 4-byte Folded Spill
	v_bfe_u32 v0, v2, 3, 3
	scratch_store_dword off, v0, off offset:8 ; 4-byte Folded Spill
	v_bfe_u32 v0, v2, 6, 3
	;; [unrolled: 2-line block ×3, first 2 shown]
	scratch_store_dword off, v0, off        ; 4-byte Folded Spill
.LBB44_38:                              ;   in Loop: Header=BB44_39 Depth=1
	v_lshl_add_u64 v[0:1], v[16:17], 0, s[8:9]
	global_load_dwordx4 v[8:11], v[16:17], off
	global_load_dwordx4 v[4:7], v[0:1], off
	v_lshl_add_u64 v[0:1], v[0:1], 0, s[8:9]
	global_load_dwordx4 v[0:3], v[0:1], off
	s_nop 0
	scratch_load_dword v12, off, off offset:12 ; 4-byte Folded Reload
	scratch_load_dword v14, off, off offset:8 ; 4-byte Folded Reload
	;; [unrolled: 1-line block ×3, first 2 shown]
	scratch_load_dword v21, off, off        ; 4-byte Folded Reload
	s_add_i32 s18, s31, 0x400
	s_add_i32 s27, s27, 32
	v_lshl_add_u64 v[16:17], v[16:17], 0, s[6:7]
	s_waitcnt vmcnt(5)
	v_and_b32_e32 v53, 0x70007, v4
	v_and_b32_e32 v54, 0x380038, v4
	s_waitcnt vmcnt(3)
	v_add_u32_e32 v12, v12, v39
	s_waitcnt vmcnt(2)
	v_add_u32_e32 v14, v14, v39
	;; [unrolled: 2-line block ×4, first 2 shown]
	v_cvt_f32_u32_e32 v22, v12
	v_cvt_f32_u32_e32 v23, v14
	;; [unrolled: 1-line block ×3, first 2 shown]
	v_mad_u32_u24 v41, v12, s34, v42
	v_mad_u32_u24 v12, v20, s34, v42
	v_cvt_f32_u32_e32 v20, v21
	v_mad_u32_u24 v43, v14, s34, v42
	v_mad_u32_u24 v14, v21, s34, v42
	v_cvt_f16_f32_e32 v21, v22
	v_cvt_f16_f32_e32 v22, v23
	;; [unrolled: 1-line block ×4, first 2 shown]
	v_sub_f16_e32 v35, 0xd800, v21
	v_sub_f16_e32 v40, 0xd800, v22
	;; [unrolled: 1-line block ×5, first 2 shown]
	v_mul_u32_u24_e32 v48, 0x10001, v35
	v_mul_u32_u24_e32 v35, 0x10001, v44
	v_lshrrev_b32_e32 v44, 6, v8
	v_sub_f16_e32 v21, 0xcc00, v21
	v_sub_f16_e32 v23, 0xcc00, v23
	;; [unrolled: 1-line block ×3, first 2 shown]
	v_mul_u32_u24_e32 v51, 0x10001, v22
	v_mul_u32_u24_e32 v22, 0x10001, v47
	v_and_b32_e32 v47, 0x70007, v44
	v_and_b32_e32 v52, 0x380038, v44
	;; [unrolled: 1-line block ×3, first 2 shown]
	v_lshrrev_b32_e32 v55, 6, v4
	v_lshrrev_b32_e32 v4, 14, v4
	;; [unrolled: 1-line block ×3, first 2 shown]
	v_mul_u32_u24_e32 v49, 0x10001, v21
	v_mul_u32_u24_e32 v50, 0x10001, v40
	;; [unrolled: 1-line block ×4, first 2 shown]
	v_and_b32_e32 v20, 0x70007, v8
	v_and_b32_e32 v21, 0x380038, v8
	v_lshrrev_b32_e32 v8, 15, v8
	v_or_b32_e32 v47, 0x64006400, v47
	v_or_b32_e32 v44, 0x64006400, v44
	v_and_b32_e32 v56, 0x70007, v55
	v_and_b32_e32 v57, 0x380038, v55
	;; [unrolled: 1-line block ×6, first 2 shown]
	v_lshrrev_b32_e32 v0, 13, v0
	v_and_b32_e32 v61, 0x70007, v60
	v_and_b32_e32 v62, 0x380038, v60
	;; [unrolled: 1-line block ×3, first 2 shown]
	v_or_b32_e32 v21, 0x64006400, v21
	v_or_b32_e32 v52, 0x64006400, v52
	;; [unrolled: 1-line block ×6, first 2 shown]
	v_and_b32_e32 v0, 0x40004, v0
	v_and_or_b32 v4, v8, s34, v4
	v_pk_add_f16 v74, v41, v47
	v_pk_fma_f16 v71, v44, s37, v49 op_sel_hi:[1,0,1]
	v_or_b32_e32 v44, 0x64006400, v62
	v_or_b32_e32 v47, 0x64006400, v60
	v_pk_fma_f16 v21, v21, s36, v48 op_sel_hi:[1,0,1]
	v_or_b32_e32 v56, 0x64006400, v56
	v_pk_fma_f16 v75, v52, s36, v48 op_sel_hi:[1,0,1]
	v_pk_fma_f16 v67, v54, s36, v48 op_sel_hi:[1,0,1]
	v_or_b32_e32 v8, 0x64006400, v61
	v_or3_b32 v0, v4, v0, s35
	v_pk_fma_f16 v68, v57, s36, v48 op_sel_hi:[1,0,1]
	v_pk_fma_f16 v69, v55, s37, v49 op_sel_hi:[1,0,1]
	;; [unrolled: 1-line block ×5, first 2 shown]
	v_and_b32_e32 v47, 0x70007, v5
	v_and_b32_e32 v48, 0x380038, v5
	v_lshrrev_b32_e32 v49, 6, v5
	v_lshrrev_b32_e32 v5, 14, v5
	v_or_b32_e32 v20, 0x64006400, v20
	v_or_b32_e32 v53, 0x64006400, v53
	;; [unrolled: 1-line block ×3, first 2 shown]
	v_pk_add_f16 v70, v41, v56
	v_pk_add_f16 v63, v41, v8
	;; [unrolled: 1-line block ×3, first 2 shown]
	v_and_b32_e32 v0, 0x70007, v9
	v_and_b32_e32 v4, 0x380038, v9
	v_lshrrev_b32_e32 v8, 6, v9
	v_lshrrev_b32_e32 v9, 15, v9
	v_and_b32_e32 v5, 0x20002, v5
	v_and_b32_e32 v54, 0x70007, v1
	;; [unrolled: 1-line block ×3, first 2 shown]
	v_lshrrev_b32_e32 v56, 6, v1
	v_lshrrev_b32_e32 v1, 13, v1
	v_pk_add_f16 v20, v41, v20
	v_pk_add_f16 v72, v41, v53
	;; [unrolled: 1-line block ×3, first 2 shown]
	v_and_b32_e32 v41, 0x70007, v8
	v_and_b32_e32 v52, 0x70007, v49
	;; [unrolled: 1-line block ×4, first 2 shown]
	v_and_or_b32 v5, v9, s34, v5
	v_or_b32_e32 v0, 0x64006400, v0
	v_or_b32_e32 v4, 0x64006400, v4
	;; [unrolled: 1-line block ×3, first 2 shown]
	v_and_b32_e32 v44, 0x380038, v8
	v_or_b32_e32 v47, 0x64006400, v47
	v_or_b32_e32 v52, 0x64006400, v52
	v_and_b32_e32 v53, 0x380038, v49
	v_and_b32_e32 v49, 0x1c001c0, v49
	v_or_b32_e32 v54, 0x64006400, v54
	v_or_b32_e32 v57, 0x64006400, v57
	v_and_b32_e32 v58, 0x380038, v56
	v_or3_b32 v1, v5, v1, s35
	v_or_b32_e32 v44, 0x64006400, v44
	v_and_b32_e32 v8, 0x1c001c0, v8
	v_or_b32_e32 v48, 0x64006400, v48
	v_or_b32_e32 v53, 0x64006400, v53
	v_or_b32_e32 v49, 0x64006400, v49
	v_or_b32_e32 v55, 0x64006400, v55
	v_or_b32_e32 v58, 0x64006400, v58
	v_and_b32_e32 v56, 0x1c001c0, v56
	v_pk_add_f16 v78, v43, v0
	v_pk_fma_f16 v79, v4, s36, v50 op_sel_hi:[1,0,1]
	v_pk_add_f16 v80, v43, v41
	v_pk_add_f16 v83, v43, v47
	;; [unrolled: 1-line block ×6, first 2 shown]
	v_and_b32_e32 v0, 0x70007, v10
	v_and_b32_e32 v1, 0x380038, v10
	v_lshrrev_b32_e32 v4, 6, v10
	v_lshrrev_b32_e32 v9, 15, v10
	v_and_b32_e32 v10, 0x70007, v6
	v_and_b32_e32 v41, 0x380038, v6
	v_lshrrev_b32_e32 v43, 6, v6
	v_lshrrev_b32_e32 v6, 14, v6
	v_or_b32_e32 v8, 0x64006400, v8
	v_or_b32_e32 v56, 0x64006400, v56
	v_pk_fma_f16 v81, v44, s36, v50 op_sel_hi:[1,0,1]
	v_pk_fma_f16 v84, v48, s36, v50 op_sel_hi:[1,0,1]
	;; [unrolled: 1-line block ×6, first 2 shown]
	v_and_b32_e32 v6, 0x20002, v6
	v_and_b32_e32 v48, 0x70007, v2
	;; [unrolled: 1-line block ×3, first 2 shown]
	v_lshrrev_b32_e32 v50, 6, v2
	v_lshrrev_b32_e32 v2, 13, v2
	v_pk_fma_f16 v82, v8, s37, v51 op_sel_hi:[1,0,1]
	v_pk_fma_f16 v92, v56, s37, v51 op_sel_hi:[1,0,1]
	v_and_b32_e32 v5, 0x70007, v4
	v_or_b32_e32 v10, 0x64006400, v10
	v_and_b32_e32 v44, 0x70007, v43
	v_and_b32_e32 v51, 0x70007, v50
	;; [unrolled: 1-line block ×3, first 2 shown]
	v_and_or_b32 v6, v9, s34, v6
	v_or_b32_e32 v0, 0x64006400, v0
	v_or_b32_e32 v5, 0x64006400, v5
	;; [unrolled: 1-line block ×5, first 2 shown]
	v_or3_b32 v2, v6, v2, s35
	v_pk_add_f16 v99, v12, v10
	v_lshrrev_b32_e32 v10, 6, v7
	v_or_b32_e32 v1, 0x64006400, v1
	v_and_b32_e32 v8, 0x380038, v4
	v_and_b32_e32 v47, 0x380038, v43
	v_pk_add_f16 v94, v12, v0
	v_pk_add_f16 v96, v12, v5
	;; [unrolled: 1-line block ×6, first 2 shown]
	v_and_b32_e32 v12, 0x380038, v10
	v_or_b32_e32 v8, 0x64006400, v8
	v_and_b32_e32 v4, 0x1c001c0, v4
	v_or_b32_e32 v47, 0x64006400, v47
	v_and_b32_e32 v43, 0x1c001c0, v43
	v_and_b32_e32 v52, 0x380038, v50
	;; [unrolled: 1-line block ×3, first 2 shown]
	v_pk_fma_f16 v95, v1, s36, v35 op_sel_hi:[1,0,1]
	v_and_b32_e32 v0, 0x70007, v11
	v_and_b32_e32 v1, 0x380038, v11
	v_or_b32_e32 v12, 0x64006400, v12
	v_or_b32_e32 v4, 0x64006400, v4
	;; [unrolled: 1-line block ×7, first 2 shown]
	v_pk_fma_f16 v97, v8, s36, v35 op_sel_hi:[1,0,1]
	v_pk_fma_f16 v102, v47, s36, v35 op_sel_hi:[1,0,1]
	v_or_b32_e32 v0, 0x64006400, v0
	v_or_b32_e32 v1, 0x64006400, v1
	v_lshrrev_b32_e32 v2, 6, v11
	v_and_b32_e32 v8, 0x70007, v7
	v_and_b32_e32 v9, 0x380038, v7
	v_lshrrev_b32_e32 v7, 14, v7
	v_pk_fma_f16 v47, v12, s36, v22 op_sel_hi:[1,0,1]
	v_mov_b32_e32 v12, s31
	v_pk_fma_f16 v98, v4, s37, v40 op_sel_hi:[1,0,1]
	v_pk_fma_f16 v100, v41, s36, v35 op_sel_hi:[1,0,1]
	v_pk_fma_f16 v103, v43, s37, v40 op_sel_hi:[1,0,1]
	v_pk_fma_f16 v105, v49, s36, v35 op_sel_hi:[1,0,1]
	v_pk_fma_f16 v107, v52, s36, v35 op_sel_hi:[1,0,1]
	v_pk_fma_f16 v108, v50, s37, v40 op_sel_hi:[1,0,1]
	v_and_b32_e32 v4, 0x70007, v2
	v_and_b32_e32 v5, 0x380038, v2
	;; [unrolled: 1-line block ×3, first 2 shown]
	v_lshrrev_b32_e32 v6, 15, v11
	v_and_b32_e32 v7, 0x20002, v7
	v_and_b32_e32 v35, 0x70007, v3
	;; [unrolled: 1-line block ×3, first 2 shown]
	v_lshrrev_b32_e32 v41, 6, v3
	v_lshrrev_b32_e32 v3, 13, v3
	v_pk_add_f16 v113, v14, v0
	v_pk_fma_f16 v114, v1, s36, v22 op_sel_hi:[1,0,1]
	ds_read2_b32 v[0:1], v12 offset1:1
	v_or_b32_e32 v2, 0x64006400, v2
	v_and_b32_e32 v3, 0x40004, v3
	v_and_or_b32 v6, v6, s34, v7
	v_or3_b32 v6, v6, v3, s35
	v_pk_fma_f16 v76, v2, s37, v23 op_sel_hi:[1,0,1]
	ds_read2_b32 v[2:3], v12 offset0:2 offset1:3
	v_and_b32_e32 v11, 0x70007, v10
	v_and_b32_e32 v10, 0x1c001c0, v10
	;; [unrolled: 1-line block ×5, first 2 shown]
	v_or_b32_e32 v4, 0x64006400, v4
	v_or_b32_e32 v5, 0x64006400, v5
	;; [unrolled: 1-line block ×7, first 2 shown]
	v_pk_add_f16 v111, v14, v4
	v_pk_fma_f16 v112, v5, s36, v22 op_sel_hi:[1,0,1]
	v_pk_fma_f16 v59, v9, s36, v22 op_sel_hi:[1,0,1]
	;; [unrolled: 1-line block ×6, first 2 shown]
	v_pk_add_f16 v54, v14, v6
	ds_read2_b32 v[4:5], v12 offset0:4 offset1:5
	ds_read2_b32 v[22:23], v12 offset0:12 offset1:13
	s_waitcnt lgkmcnt(3)
	v_pk_fma_f16 v6, v20, v0, 0
	v_or_b32_e32 v8, 0x64006400, v8
	v_pk_fma_f16 v6, v21, v1, v6
	v_pk_add_f16 v77, v14, v8
	s_waitcnt lgkmcnt(2)
	v_pk_fma_f16 v8, v74, v2, v6
	ds_read2_b32 v[6:7], v12 offset0:6 offset1:7
	ds_read2_b32 v[40:41], v12 offset0:14 offset1:15
	v_pk_fma_f16 v8, v75, v3, v8
	v_or_b32_e32 v11, 0x64006400, v11
	s_waitcnt lgkmcnt(3)
	v_pk_fma_f16 v10, v71, v4, v8
	ds_read2_b32 v[8:9], v12 offset0:8 offset1:9
	v_pk_fma_f16 v10, v72, v5, v10
	v_or_b32_e32 v35, 0x64006400, v35
	v_or_b32_e32 v43, 0x64006400, v43
	s_waitcnt lgkmcnt(2)
	v_pk_fma_f16 v10, v67, v6, v10
	v_pk_add_f16 v60, v14, v11
	v_pk_add_f16 v49, v14, v35
	;; [unrolled: 1-line block ×3, first 2 shown]
	v_pk_fma_f16 v14, v70, v7, v10
	ds_read2_b32 v[10:11], v12 offset0:10 offset1:11
	ds_read2_b32 v[124:125], v12 offset0:128 offset1:129
	s_waitcnt lgkmcnt(2)
	v_pk_fma_f16 v14, v68, v8, v14
	s_nop 0
	v_pk_fma_f16 v14, v69, v9, v14
	s_waitcnt lgkmcnt(1)
	v_pk_fma_f16 v14, v65, v10, v14
	s_nop 0
	v_pk_fma_f16 v14, v66, v11, v14
	s_nop 0
	;; [unrolled: 2-line block ×5, first 2 shown]
	v_pk_fma_f16 v117, v62, v41, v14
	v_pk_fma_f16 v14, v78, v0, 0
	s_nop 0
	v_pk_fma_f16 v14, v79, v1, v14
	s_nop 0
	;; [unrolled: 2-line block ×15, first 2 shown]
	v_pk_fma_f16 v118, v93, v41, v14
	v_pk_fma_f16 v14, v94, v0, 0
	v_pk_fma_f16 v0, v113, v0, 0
	v_pk_fma_f16 v14, v95, v1, v14
	v_pk_fma_f16 v0, v114, v1, v0
	v_pk_fma_f16 v14, v96, v2, v14
	v_pk_fma_f16 v0, v111, v2, v0
	v_pk_fma_f16 v14, v97, v3, v14
	v_pk_fma_f16 v0, v112, v3, v0
	v_pk_fma_f16 v14, v98, v4, v14
	v_pk_fma_f16 v0, v76, v4, v0
	v_pk_fma_f16 v14, v99, v5, v14
	v_pk_fma_f16 v0, v77, v5, v0
	v_pk_fma_f16 v14, v100, v6, v14
	v_pk_fma_f16 v0, v59, v6, v0
	v_pk_fma_f16 v14, v101, v7, v14
	v_pk_fma_f16 v0, v60, v7, v0
	v_pk_fma_f16 v14, v102, v8, v14
	v_pk_fma_f16 v0, v47, v8, v0
	v_pk_fma_f16 v14, v103, v9, v14
	v_pk_fma_f16 v0, v48, v9, v0
	v_pk_fma_f16 v14, v104, v10, v14
	v_pk_fma_f16 v0, v49, v10, v0
	v_pk_fma_f16 v14, v105, v11, v14
	v_pk_fma_f16 v0, v50, v11, v0
	v_pk_fma_f16 v14, v106, v22, v14
	v_pk_fma_f16 v2, v51, v22, v0
	ds_read2_b32 v[0:1], v12 offset0:64 offset1:65
	v_pk_fma_f16 v2, v52, v23, v2
	v_pk_fma_f16 v14, v107, v23, v14
	;; [unrolled: 1-line block ×3, first 2 shown]
	ds_read2_b32 v[2:3], v12 offset0:66 offset1:67
	ds_read2_b32 v[22:23], v12 offset0:76 offset1:77
	v_pk_fma_f16 v56, v54, v41, v4
	ds_read2_b32 v[4:5], v12 offset0:68 offset1:69
	s_waitcnt lgkmcnt(3)
	v_pk_fma_f16 v6, v20, v0, 0
	v_pk_fma_f16 v14, v108, v40, v14
	;; [unrolled: 1-line block ×4, first 2 shown]
	s_waitcnt lgkmcnt(2)
	v_pk_fma_f16 v8, v74, v2, v6
	ds_read2_b32 v[6:7], v12 offset0:70 offset1:71
	ds_read2_b32 v[40:41], v12 offset0:78 offset1:79
	v_pk_fma_f16 v8, v75, v3, v8
	s_waitcnt lgkmcnt(2)
	v_pk_fma_f16 v10, v71, v4, v8
	ds_read2_b32 v[8:9], v12 offset0:72 offset1:73
	v_pk_fma_f16 v10, v72, v5, v10
	s_waitcnt lgkmcnt(2)
	v_pk_fma_f16 v10, v67, v6, v10
	s_nop 0
	v_pk_fma_f16 v14, v70, v7, v10
	ds_read2_b32 v[10:11], v12 offset0:74 offset1:75
	s_waitcnt lgkmcnt(1)
	v_pk_fma_f16 v14, v68, v8, v14
	s_nop 0
	v_pk_fma_f16 v14, v69, v9, v14
	s_waitcnt lgkmcnt(0)
	v_pk_fma_f16 v14, v65, v10, v14
	s_nop 0
	v_pk_fma_f16 v14, v66, v11, v14
	s_nop 0
	;; [unrolled: 2-line block ×5, first 2 shown]
	v_pk_fma_f16 v120, v62, v41, v14
	v_pk_fma_f16 v14, v78, v0, 0
	s_nop 0
	v_pk_fma_f16 v14, v79, v1, v14
	s_nop 0
	;; [unrolled: 2-line block ×15, first 2 shown]
	v_pk_fma_f16 v122, v93, v41, v14
	v_pk_fma_f16 v14, v94, v0, 0
	;; [unrolled: 1-line block ×19, first 2 shown]
	ds_read2_b32 v[6:7], v12 offset0:134 offset1:135
	v_pk_fma_f16 v0, v48, v9, v0
	v_pk_fma_f16 v14, v103, v9, v14
	;; [unrolled: 1-line block ×3, first 2 shown]
	ds_read2_b32 v[8:9], v12 offset0:136 offset1:137
	v_pk_fma_f16 v0, v50, v11, v0
	v_pk_fma_f16 v14, v104, v10, v14
	;; [unrolled: 1-line block ×7, first 2 shown]
	ds_read2_b32 v[0:1], v12 offset0:130 offset1:131
	v_pk_fma_f16 v58, v54, v41, v2
	v_pk_fma_f16 v2, v20, v124, 0
	;; [unrolled: 1-line block ×4, first 2 shown]
	ds_read2_b32 v[2:3], v12 offset0:132 offset1:133
	s_waitcnt lgkmcnt(1)
	v_pk_fma_f16 v4, v74, v0, v4
	v_pk_fma_f16 v14, v108, v40, v14
	;; [unrolled: 1-line block ×4, first 2 shown]
	s_waitcnt lgkmcnt(0)
	v_pk_fma_f16 v4, v71, v2, v4
	v_pk_fma_f16 v22, v78, v124, 0
	;; [unrolled: 1-line block ×11, first 2 shown]
	ds_read2_b32 v[10:11], v12 offset0:138 offset1:139
	ds_read2_b32 v[4:5], v12 offset0:140 offset1:141
	v_pk_fma_f16 v41, v114, v125, v22
	ds_read2_b32 v[22:23], v12 offset0:142 offset1:143
	s_waitcnt lgkmcnt(2)
	v_pk_fma_f16 v14, v65, v10, v14
	s_nop 0
	v_pk_fma_f16 v14, v66, v11, v14
	s_waitcnt lgkmcnt(1)
	v_pk_fma_f16 v14, v63, v4, v14
	s_nop 0
	v_pk_fma_f16 v14, v64, v5, v14
	;; [unrolled: 4-line block ×3, first 2 shown]
	v_pk_fma_f16 v14, v80, v0, v35
	s_nop 0
	v_pk_fma_f16 v14, v81, v1, v14
	s_nop 0
	;; [unrolled: 2-line block ×13, first 2 shown]
	v_pk_fma_f16 v124, v93, v23, v14
	v_pk_fma_f16 v14, v96, v0, v40
	;; [unrolled: 1-line block ×21, first 2 shown]
	ds_read2_b32 v[8:9], v12 offset0:192 offset1:193
	ds_read2_b32 v[6:7], v12 offset0:196 offset1:197
	v_pk_fma_f16 v14, v106, v4, v14
	v_pk_fma_f16 v0, v51, v4, v0
	;; [unrolled: 1-line block ×4, first 2 shown]
	ds_read2_b32 v[4:5], v12 offset0:194 offset1:195
	v_pk_fma_f16 v0, v53, v22, v0
	v_pk_fma_f16 v14, v108, v22, v14
	;; [unrolled: 1-line block ×3, first 2 shown]
	s_waitcnt lgkmcnt(2)
	v_pk_fma_f16 v0, v20, v8, 0
	v_pk_fma_f16 v73, v109, v23, v14
	v_pk_fma_f16 v0, v21, v9, v0
	v_pk_fma_f16 v11, v78, v8, 0
	s_waitcnt lgkmcnt(0)
	v_pk_fma_f16 v2, v74, v4, v0
	ds_read2_b32 v[0:1], v12 offset0:198 offset1:199
	v_pk_fma_f16 v10, v75, v5, v2
	ds_read2_b32 v[2:3], v12 offset0:200 offset1:201
	v_pk_fma_f16 v14, v94, v8, 0
	v_pk_fma_f16 v8, v113, v8, 0
	;; [unrolled: 1-line block ×7, first 2 shown]
	ds_read2_b32 v[8:9], v12 offset0:202 offset1:203
	v_pk_fma_f16 v11, v80, v4, v11
	v_pk_fma_f16 v14, v96, v4, v14
	;; [unrolled: 1-line block ×6, first 2 shown]
	ds_read2_b32 v[4:5], v12 offset0:204 offset1:205
	s_waitcnt lgkmcnt(3)
	v_pk_fma_f16 v10, v67, v0, v10
	v_pk_fma_f16 v11, v82, v6, v11
	v_pk_fma_f16 v10, v70, v1, v10
	v_pk_fma_f16 v14, v98, v6, v14
	s_waitcnt lgkmcnt(2)
	v_pk_fma_f16 v10, v68, v2, v10
	v_pk_fma_f16 v6, v76, v6, v22
	;; [unrolled: 1-line block ×6, first 2 shown]
	ds_read2_b32 v[6:7], v12 offset0:206 offset1:207
	s_waitcnt lgkmcnt(2)
	v_pk_fma_f16 v10, v65, v8, v10
	s_nop 0
	v_pk_fma_f16 v10, v66, v9, v10
	s_waitcnt lgkmcnt(1)
	v_pk_fma_f16 v10, v63, v4, v10
	s_nop 0
	v_pk_fma_f16 v10, v64, v5, v10
	;; [unrolled: 4-line block ×3, first 2 shown]
	v_pk_fma_f16 v10, v84, v0, v11
	s_nop 0
	v_pk_fma_f16 v10, v85, v1, v10
	s_nop 0
	;; [unrolled: 2-line block ×9, first 2 shown]
	v_pk_fma_f16 v40, v93, v7, v10
	v_pk_fma_f16 v10, v100, v0, v14
	;; [unrolled: 1-line block ×17, first 2 shown]
	v_mov_b32_e32 v0, s18
	ds_read2_b32 v[4:5], v0 offset1:1
	s_add_i32 s18, s31, 0x408
	v_mov_b32_e32 v0, s18
	ds_read2_b32 v[0:1], v0 offset1:1
	v_pk_fma_f16 v2, v53, v6, v2
	s_add_i32 s18, s31, 0x410
	v_pk_fma_f16 v116, v54, v7, v2
	s_waitcnt lgkmcnt(1)
	v_pk_fma_f16 v2, v20, v4, 0
	v_pk_fma_f16 v10, v108, v6, v10
	;; [unrolled: 1-line block ×4, first 2 shown]
	s_waitcnt lgkmcnt(0)
	v_pk_fma_f16 v2, v74, v0, v2
	v_pk_fma_f16 v8, v78, v4, 0
	;; [unrolled: 1-line block ×3, first 2 shown]
	v_mov_b32_e32 v2, s18
	ds_read2_b32 v[2:3], v2 offset1:1
	s_add_i32 s18, s31, 0x418
	v_mov_b32_e32 v7, s18
	v_pk_fma_f16 v9, v94, v4, 0
	v_pk_fma_f16 v4, v113, v4, 0
	;; [unrolled: 1-line block ×5, first 2 shown]
	ds_read2_b32 v[4:5], v7 offset1:1
	s_add_i32 s18, s31, 0x420
	v_mov_b32_e32 v7, s18
	v_pk_fma_f16 v8, v80, v0, v8
	v_pk_fma_f16 v9, v96, v0, v9
	v_pk_fma_f16 v0, v111, v0, v10
	v_pk_fma_f16 v8, v81, v1, v8
	v_pk_fma_f16 v9, v97, v1, v9
	v_pk_fma_f16 v10, v112, v1, v0
	ds_read2_b32 v[0:1], v7 offset1:1
	s_add_i32 s18, s31, 0x428
	s_waitcnt lgkmcnt(2)
	v_pk_fma_f16 v6, v71, v2, v6
	v_mov_b32_e32 v7, s18
	v_pk_fma_f16 v8, v82, v2, v8
	v_pk_fma_f16 v9, v98, v2, v9
	v_pk_fma_f16 v2, v76, v2, v10
	v_pk_fma_f16 v6, v72, v3, v6
	v_pk_fma_f16 v8, v83, v3, v8
	v_pk_fma_f16 v9, v99, v3, v9
	v_pk_fma_f16 v10, v77, v3, v2
	ds_read2_b32 v[2:3], v7 offset1:1
	s_add_i32 s18, s31, 0x430
	s_waitcnt lgkmcnt(2)
	v_pk_fma_f16 v6, v67, v4, v6
	v_mov_b32_e32 v7, s18
	v_pk_fma_f16 v8, v84, v4, v8
	;; [unrolled: 12-line block ×3, first 2 shown]
	v_pk_fma_f16 v9, v102, v0, v9
	v_pk_fma_f16 v0, v47, v0, v10
	;; [unrolled: 1-line block ×6, first 2 shown]
	ds_read2_b32 v[0:1], v7 offset1:1
	s_waitcnt lgkmcnt(2)
	v_pk_fma_f16 v6, v65, v2, v6
	s_add_i32 s18, s31, 0x500
	v_pk_fma_f16 v6, v66, v3, v6
	s_waitcnt lgkmcnt(1)
	v_pk_fma_f16 v6, v63, v4, v6
	s_nop 0
	v_pk_fma_f16 v6, v64, v5, v6
	s_waitcnt lgkmcnt(0)
	v_pk_fma_f16 v6, v61, v0, v6
	s_nop 0
	v_pk_fma_f16 v14, v62, v1, v6
	v_pk_fma_f16 v6, v88, v2, v8
	s_nop 0
	v_pk_fma_f16 v6, v89, v3, v6
	s_nop 0
	;; [unrolled: 2-line block ×5, first 2 shown]
	v_pk_fma_f16 v12, v93, v1, v6
	v_pk_fma_f16 v6, v104, v2, v9
	;; [unrolled: 1-line block ×4, first 2 shown]
	s_nop 0
	v_pk_fma_f16 v6, v106, v4, v6
	s_nop 0
	v_pk_fma_f16 v6, v107, v5, v6
	;; [unrolled: 2-line block ×4, first 2 shown]
	v_pk_fma_f16 v6, v50, v3, v2
	v_mov_b32_e32 v2, s18
	ds_read2_b32 v[2:3], v2 offset1:1
	v_pk_fma_f16 v4, v51, v4, v6
	s_add_i32 s18, s31, 0x508
	v_pk_fma_f16 v4, v52, v5, v4
	s_nop 0
	v_pk_fma_f16 v0, v53, v0, v4
	s_nop 0
	v_pk_fma_f16 v121, v54, v1, v0
	s_waitcnt lgkmcnt(0)
	v_pk_fma_f16 v1, v78, v2, 0
	v_pk_fma_f16 v0, v20, v2, 0
	;; [unrolled: 1-line block ×5, first 2 shown]
	v_mov_b32_e32 v0, s18
	v_pk_fma_f16 v6, v95, v3, v1
	v_pk_fma_f16 v1, v113, v2, 0
	s_add_i32 s18, s31, 0x510
	v_pk_fma_f16 v2, v114, v3, v1
	ds_read2_b32 v[0:1], v0 offset1:1
	s_waitcnt lgkmcnt(0)
	v_pk_fma_f16 v3, v74, v0, v4
	v_mov_b32_e32 v4, s18
	v_pk_fma_f16 v5, v80, v0, v5
	v_pk_fma_f16 v6, v96, v0, v6
	;; [unrolled: 1-line block ×7, first 2 shown]
	ds_read2_b32 v[0:1], v4 offset1:1
	s_add_i32 s18, s31, 0x518
	v_mov_b32_e32 v4, s18
	s_add_i32 s18, s31, 0x520
	s_waitcnt lgkmcnt(0)
	v_pk_fma_f16 v3, v71, v0, v3
	v_pk_fma_f16 v5, v82, v0, v5
	v_pk_fma_f16 v6, v98, v0, v6
	v_pk_fma_f16 v0, v76, v0, v2
	v_pk_fma_f16 v3, v72, v1, v3
	v_pk_fma_f16 v5, v83, v1, v5
	v_pk_fma_f16 v6, v99, v1, v6
	v_pk_fma_f16 v2, v77, v1, v0
	ds_read2_b32 v[0:1], v4 offset1:1
	v_mov_b32_e32 v4, s18
	s_add_i32 s18, s31, 0x528
	s_waitcnt lgkmcnt(0)
	v_pk_fma_f16 v3, v67, v0, v3
	v_pk_fma_f16 v5, v84, v0, v5
	v_pk_fma_f16 v6, v100, v0, v6
	v_pk_fma_f16 v0, v59, v0, v2
	v_pk_fma_f16 v3, v70, v1, v3
	v_pk_fma_f16 v5, v85, v1, v5
	v_pk_fma_f16 v6, v101, v1, v6
	v_pk_fma_f16 v2, v60, v1, v0
	ds_read2_b32 v[0:1], v4 offset1:1
	;; [unrolled: 12-line block ×5, first 2 shown]
	s_waitcnt lgkmcnt(0)
	v_pk_fma_f16 v3, v61, v0, v3
	s_nop 0
	v_pk_fma_f16 v43, v62, v1, v3
	v_pk_fma_f16 v3, v92, v0, v5
	s_nop 0
	v_pk_fma_f16 v44, v93, v1, v3
	v_pk_fma_f16 v3, v108, v0, v6
	;; [unrolled: 1-line block ×5, first 2 shown]
	v_mov_b32_e32 v0, s18
	ds_read2_b32 v[0:1], v0 offset1:1
	s_add_i32 s18, s31, 0x608
	s_waitcnt lgkmcnt(0)
	v_pk_fma_f16 v2, v20, v0, 0
	v_pk_fma_f16 v3, v78, v0, 0
	v_pk_fma_f16 v4, v94, v0, 0
	v_pk_fma_f16 v0, v113, v0, 0
	v_pk_fma_f16 v2, v21, v1, v2
	v_pk_fma_f16 v5, v114, v1, v0
	v_mov_b32_e32 v0, s18
	v_pk_fma_f16 v3, v79, v1, v3
	v_pk_fma_f16 v4, v95, v1, v4
	ds_read2_b32 v[0:1], v0 offset1:1
	s_add_i32 s18, s31, 0x610
	s_waitcnt lgkmcnt(0)
	v_pk_fma_f16 v2, v74, v0, v2
	v_pk_fma_f16 v3, v80, v0, v3
	v_pk_fma_f16 v4, v96, v0, v4
	v_pk_fma_f16 v0, v111, v0, v5
	v_pk_fma_f16 v2, v75, v1, v2
	v_pk_fma_f16 v5, v112, v1, v0
	v_mov_b32_e32 v0, s18
	v_pk_fma_f16 v3, v81, v1, v3
	v_pk_fma_f16 v4, v97, v1, v4
	;; [unrolled: 12-line block ×7, first 2 shown]
	ds_read2_b32 v[0:1], v0 offset1:1
	s_add_i32 s18, s31, 0x700
	s_waitcnt lgkmcnt(0)
	v_pk_fma_f16 v2, v61, v0, v2
	s_nop 0
	v_pk_fma_f16 v45, v62, v1, v2
	v_pk_fma_f16 v2, v92, v0, v3
	s_nop 0
	v_pk_fma_f16 v46, v93, v1, v2
	v_pk_fma_f16 v2, v108, v0, v4
	;; [unrolled: 1-line block ×5, first 2 shown]
	v_mov_b32_e32 v0, s18
	ds_read2_b32 v[22:23], v0 offset1:1
	s_add_i32 s18, s31, 0x708
	v_mov_b32_e32 v1, s18
	s_add_i32 s18, s31, 0x710
	s_waitcnt lgkmcnt(0)
	v_pk_fma_f16 v0, v20, v22, 0
	s_nop 0
	v_pk_fma_f16 v0, v21, v23, v0
	ds_read2_b32 v[20:21], v1 offset1:1
	v_mov_b32_e32 v1, s18
	ds_read2_b32 v[10:11], v1 offset1:1
	s_add_i32 s18, s31, 0x718
	v_mov_b32_e32 v1, s18
	ds_read2_b32 v[8:9], v1 offset1:1
	s_waitcnt lgkmcnt(2)
	v_pk_fma_f16 v0, v74, v20, v0
	s_add_i32 s18, s31, 0x720
	v_pk_fma_f16 v0, v75, v21, v0
	s_waitcnt lgkmcnt(1)
	v_pk_fma_f16 v0, v71, v10, v0
	s_nop 0
	v_pk_fma_f16 v0, v72, v11, v0
	s_waitcnt lgkmcnt(0)
	v_pk_fma_f16 v0, v67, v8, v0
	s_nop 0
	v_pk_fma_f16 v2, v70, v9, v0
	v_mov_b32_e32 v0, s18
	ds_read2_b32 v[0:1], v0 offset1:1
	s_add_i32 s18, s31, 0x728
	s_waitcnt lgkmcnt(0)
	v_pk_fma_f16 v2, v68, v0, v2
	s_nop 0
	v_pk_fma_f16 v4, v69, v1, v2
	v_mov_b32_e32 v2, s18
	ds_read2_b32 v[2:3], v2 offset1:1
	s_add_i32 s18, s31, 0x730
	;; [unrolled: 7-line block ×3, first 2 shown]
	s_add_i32 s31, s31, 64
	s_cmp_ge_i32 s27, s28
	s_waitcnt lgkmcnt(0)
	v_pk_fma_f16 v6, v63, v4, v6
	s_nop 0
	v_pk_fma_f16 v63, v64, v5, v6
	v_mov_b32_e32 v6, s18
	ds_read2_b32 v[6:7], v6 offset1:1
	v_perm_b32 v64, v118, v117, s38
	s_waitcnt lgkmcnt(0)
	v_pk_fma_f16 v61, v61, v6, v63
	s_nop 0
	v_pk_fma_f16 v61, v62, v7, v61
	v_pk_fma_f16 v62, v78, v22, 0
	v_pack_b32_f16 v63, v117, v118
	v_pk_fma_f16 v62, v79, v23, v62
	v_pk_add_f16 v63, v63, v64
	v_pk_fma_f16 v62, v80, v20, v62
	v_pk_fma_f16 v38, v63, v18, v38
	;; [unrolled: 1-line block ×3, first 2 shown]
	v_pack_b32_f16 v63, v120, v122
	v_pk_fma_f16 v62, v82, v10, v62
	v_perm_b32 v64, v122, v120, s38
	v_pk_fma_f16 v62, v83, v11, v62
	v_pk_add_f16 v63, v63, v64
	v_pk_fma_f16 v62, v84, v8, v62
	v_pk_fma_f16 v36, v63, v18, v36
	v_pack_b32_f16 v63, v123, v124
	v_perm_b32 v64, v124, v123, s38
	v_pk_fma_f16 v62, v85, v9, v62
	v_pk_add_f16 v63, v63, v64
	v_pk_fma_f16 v62, v86, v0, v62
	v_pk_fma_f16 v33, v63, v18, v33
	v_pack_b32_f16 v63, v127, v40
	;; [unrolled: 6-line block ×5, first 2 shown]
	v_perm_b32 v14, v46, v45, s38
	v_pk_fma_f16 v62, v93, v7, v62
	v_pk_add_f16 v12, v12, v14
	v_perm_b32 v14, v62, v61, s38
	v_pk_fma_f16 v25, v12, v18, v25
	v_pack_b32_f16 v12, v61, v62
	v_pk_add_f16 v12, v12, v14
	v_pk_fma_f16 v14, v113, v22, 0
	v_pk_fma_f16 v15, v12, v18, v15
	;; [unrolled: 1-line block ×9, first 2 shown]
	s_nop 0
	v_pk_fma_f16 v12, v98, v10, v12
	v_pk_fma_f16 v10, v76, v10, v14
	;; [unrolled: 1-line block ×14, first 2 shown]
	v_pack_b32_f16 v1, v55, v56
	v_perm_b32 v2, v56, v55, s38
	v_pk_add_f16 v1, v1, v2
	v_perm_b32 v2, v58, v57, s38
	v_pk_fma_f16 v37, v1, v19, v37
	v_pack_b32_f16 v1, v57, v58
	v_pk_add_f16 v1, v1, v2
	v_perm_b32 v2, v110, v73, s38
	v_pk_fma_f16 v34, v1, v19, v34
	v_pack_b32_f16 v1, v73, v110
	;; [unrolled: 4-line block ×4, first 2 shown]
	v_pk_fma_f16 v12, v105, v3, v12
	v_pk_fma_f16 v0, v50, v3, v0
	v_pk_add_f16 v1, v1, v2
	v_pk_fma_f16 v12, v106, v4, v12
	v_pk_fma_f16 v0, v51, v4, v0
	;; [unrolled: 1-line block ×3, first 2 shown]
	v_pack_b32_f16 v1, v125, v126
	v_perm_b32 v2, v126, v125, s38
	v_pk_fma_f16 v12, v107, v5, v12
	v_pk_fma_f16 v0, v52, v5, v0
	v_pk_add_f16 v1, v1, v2
	v_pk_fma_f16 v12, v108, v6, v12
	v_pk_fma_f16 v0, v53, v6, v0
	;; [unrolled: 1-line block ×3, first 2 shown]
	v_pack_b32_f16 v1, v41, v35
	v_perm_b32 v2, v35, v41, s38
	v_pk_fma_f16 v12, v109, v7, v12
	v_pk_fma_f16 v0, v54, v7, v0
	v_pk_add_f16 v1, v1, v2
	s_nop 0
	v_pk_fma_f16 v24, v1, v19, v24
	v_pack_b32_f16 v1, v12, v0
	v_perm_b32 v0, v0, v12, s38
	v_pk_add_f16 v0, v1, v0
	s_nop 0
	v_pk_fma_f16 v13, v0, v19, v13
	s_cbranch_scc1 .LBB44_56
.LBB44_39:                              ; =>This Inner Loop Header: Depth=1
	s_cmp_lg_u32 s27, s33
	s_cbranch_scc1 .LBB44_38
; %bb.40:                               ;   in Loop: Header=BB44_39 Depth=1
	scratch_load_dwordx2 v[0:1], off, off offset:24 ; 8-byte Folded Reload
	s_add_i32 s30, s30, 1
	s_mul_i32 s39, s30, s16
	s_ashr_i32 s18, s39, 31
	s_lshr_b32 s18, s18, 27
	s_add_i32 s18, s39, s18
	s_ashr_i32 s18, s18, 5
                                        ; implicit-def: $vgpr2
	s_waitcnt vmcnt(0)
	v_mad_u64_u32 v[0:1], s[18:19], s18, 3, v[0:1]
	v_ashrrev_i32_e32 v1, 31, v0
	v_lshl_add_u64 v[0:1], v[0:1], 2, s[10:11]
	global_load_dword v3, v[0:1], off
	s_and_saveexec_b64 s[18:19], vcc
	s_xor_b64 s[18:19], exec, s[18:19]
	s_cbranch_execz .LBB44_54
; %bb.41:                               ;   in Loop: Header=BB44_39 Depth=1
                                        ; implicit-def: $vgpr2
	s_and_saveexec_b64 s[20:21], s[0:1]
	s_xor_b64 s[20:21], exec, s[20:21]
	s_cbranch_execz .LBB44_51
; %bb.42:                               ;   in Loop: Header=BB44_39 Depth=1
                                        ; implicit-def: $vgpr2
	s_and_saveexec_b64 s[22:23], s[2:3]
	;; [unrolled: 5-line block ×3, first 2 shown]
	s_xor_b64 s[24:25], exec, s[24:25]
	s_cbranch_execz .LBB44_45
; %bb.44:                               ;   in Loop: Header=BB44_39 Depth=1
	scratch_load_dword v0, off, off offset:40 ; 4-byte Folded Reload
	s_waitcnt vmcnt(0)
	v_lshrrev_b32_e32 v2, v0, v3
                                        ; implicit-def: $vgpr0_vgpr1
                                        ; implicit-def: $vgpr3
.LBB44_45:                              ;   in Loop: Header=BB44_39 Depth=1
	s_andn2_saveexec_b64 s[24:25], s[24:25]
	s_cbranch_execz .LBB44_47
; %bb.46:                               ;   in Loop: Header=BB44_39 Depth=1
	global_load_dword v0, v[0:1], off offset:4
	s_waitcnt vmcnt(0)
	v_alignbit_b32 v0, v0, v3, 28
	v_and_b32_e32 v2, 0xfff, v0
.LBB44_47:                              ;   in Loop: Header=BB44_39 Depth=1
	s_or_b64 exec, exec, s[24:25]
                                        ; implicit-def: $vgpr3
.LBB44_48:                              ;   in Loop: Header=BB44_39 Depth=1
	s_andn2_saveexec_b64 s[22:23], s[22:23]
	s_cbranch_execz .LBB44_50
; %bb.49:                               ;   in Loop: Header=BB44_39 Depth=1
	scratch_load_dword v0, off, off offset:36 ; 4-byte Folded Reload
	s_waitcnt vmcnt(0)
	v_lshrrev_b32_e32 v2, v0, v3
.LBB44_50:                              ;   in Loop: Header=BB44_39 Depth=1
	s_or_b64 exec, exec, s[22:23]
                                        ; implicit-def: $vgpr0_vgpr1
                                        ; implicit-def: $vgpr3
.LBB44_51:                              ;   in Loop: Header=BB44_39 Depth=1
	s_andn2_saveexec_b64 s[20:21], s[20:21]
	s_cbranch_execz .LBB44_53
; %bb.52:                               ;   in Loop: Header=BB44_39 Depth=1
	global_load_dword v0, v[0:1], off offset:4
	s_waitcnt vmcnt(0)
	v_perm_b32 v0, v3, v0, s17
	v_and_b32_e32 v2, 0xfff, v0
.LBB44_53:                              ;   in Loop: Header=BB44_39 Depth=1
	s_or_b64 exec, exec, s[20:21]
                                        ; implicit-def: $vgpr3
.LBB44_54:                              ;   in Loop: Header=BB44_39 Depth=1
	s_andn2_saveexec_b64 s[18:19], s[18:19]
	s_cbranch_execz .LBB44_37
; %bb.55:                               ;   in Loop: Header=BB44_39 Depth=1
	scratch_load_dword v0, off, off offset:32 ; 4-byte Folded Reload
	s_waitcnt vmcnt(0)
	v_lshrrev_b32_e32 v2, v0, v3
	s_branch .LBB44_37
.LBB44_56:
	scratch_load_dwordx2 v[0:1], off, off offset:16 ; 8-byte Folded Reload
	s_mul_i32 s26, s26, s16
	s_mov_b64 s[0:1], 0
	s_waitcnt vmcnt(0)
	v_add_u32_e32 v0, s26, v0
	v_ashrrev_i32_e32 v1, 31, v0
	v_lshl_add_u64 v[2:3], v[0:1], 1, s[14:15]
	global_load_dword v5, v[2:3], off
.LBB44_57:                              ; =>This Inner Loop Header: Depth=1
	s_waitcnt vmcnt(0)
	v_pk_add_f16 v4, v38, v5
	global_atomic_cmpswap v1, v[2:3], v[4:5], off sc0
	s_waitcnt vmcnt(0)
	v_cmp_eq_u32_e32 vcc, v5, v1
	s_or_b64 s[0:1], vcc, s[0:1]
	v_mov_b32_e32 v5, v1
	s_andn2_b64 exec, exec, s[0:1]
	s_cbranch_execnz .LBB44_57
; %bb.58:
	s_or_b64 exec, exec, s[0:1]
	global_load_dword v5, v[2:3], off offset:4
	s_mov_b64 s[0:1], 0
.LBB44_59:                              ; =>This Inner Loop Header: Depth=1
	s_waitcnt vmcnt(0)
	v_pk_add_f16 v4, v37, v5
	global_atomic_cmpswap v1, v[2:3], v[4:5], off offset:4 sc0
	s_waitcnt vmcnt(0)
	v_cmp_eq_u32_e32 vcc, v5, v1
	s_or_b64 s[0:1], vcc, s[0:1]
	v_mov_b32_e32 v5, v1
	s_andn2_b64 exec, exec, s[0:1]
	s_cbranch_execnz .LBB44_59
; %bb.60:
	s_or_b64 exec, exec, s[0:1]
	v_add_u32_e32 v0, s16, v0
	v_ashrrev_i32_e32 v1, 31, v0
	v_lshl_add_u64 v[2:3], v[0:1], 1, s[14:15]
	global_load_dword v5, v[2:3], off
	s_mov_b64 s[0:1], 0
.LBB44_61:                              ; =>This Inner Loop Header: Depth=1
	s_waitcnt vmcnt(0)
	v_pk_add_f16 v4, v36, v5
	global_atomic_cmpswap v1, v[2:3], v[4:5], off sc0
	s_waitcnt vmcnt(0)
	v_cmp_eq_u32_e32 vcc, v5, v1
	s_or_b64 s[0:1], vcc, s[0:1]
	v_mov_b32_e32 v5, v1
	s_andn2_b64 exec, exec, s[0:1]
	s_cbranch_execnz .LBB44_61
; %bb.62:
	s_or_b64 exec, exec, s[0:1]
	global_load_dword v5, v[2:3], off offset:4
	s_mov_b64 s[0:1], 0
.LBB44_63:                              ; =>This Inner Loop Header: Depth=1
	s_waitcnt vmcnt(0)
	v_pk_add_f16 v4, v34, v5
	global_atomic_cmpswap v1, v[2:3], v[4:5], off offset:4 sc0
	s_waitcnt vmcnt(0)
	v_cmp_eq_u32_e32 vcc, v5, v1
	s_or_b64 s[0:1], vcc, s[0:1]
	v_mov_b32_e32 v5, v1
	s_andn2_b64 exec, exec, s[0:1]
	s_cbranch_execnz .LBB44_63
; %bb.64:
	s_or_b64 exec, exec, s[0:1]
	v_add_u32_e32 v0, s16, v0
	v_ashrrev_i32_e32 v1, 31, v0
	v_lshl_add_u64 v[2:3], v[0:1], 1, s[14:15]
	global_load_dword v5, v[2:3], off
	s_mov_b64 s[0:1], 0
.LBB44_65:                              ; =>This Inner Loop Header: Depth=1
	s_waitcnt vmcnt(0)
	v_pk_add_f16 v4, v33, v5
	global_atomic_cmpswap v1, v[2:3], v[4:5], off sc0
	s_waitcnt vmcnt(0)
	v_cmp_eq_u32_e32 vcc, v5, v1
	s_or_b64 s[0:1], vcc, s[0:1]
	v_mov_b32_e32 v5, v1
	s_andn2_b64 exec, exec, s[0:1]
	s_cbranch_execnz .LBB44_65
; %bb.66:
	s_or_b64 exec, exec, s[0:1]
	global_load_dword v5, v[2:3], off offset:4
	s_mov_b64 s[0:1], 0
.LBB44_67:                              ; =>This Inner Loop Header: Depth=1
	s_waitcnt vmcnt(0)
	v_pk_add_f16 v4, v32, v5
	global_atomic_cmpswap v1, v[2:3], v[4:5], off offset:4 sc0
	s_waitcnt vmcnt(0)
	v_cmp_eq_u32_e32 vcc, v5, v1
	s_or_b64 s[0:1], vcc, s[0:1]
	v_mov_b32_e32 v5, v1
	s_andn2_b64 exec, exec, s[0:1]
	s_cbranch_execnz .LBB44_67
; %bb.68:
	s_or_b64 exec, exec, s[0:1]
	v_add_u32_e32 v0, s16, v0
	v_ashrrev_i32_e32 v1, 31, v0
	v_lshl_add_u64 v[2:3], v[0:1], 1, s[14:15]
	global_load_dword v5, v[2:3], off
	s_mov_b64 s[0:1], 0
.LBB44_69:                              ; =>This Inner Loop Header: Depth=1
	s_waitcnt vmcnt(0)
	v_pk_add_f16 v4, v31, v5
	global_atomic_cmpswap v1, v[2:3], v[4:5], off sc0
	s_waitcnt vmcnt(0)
	v_cmp_eq_u32_e32 vcc, v5, v1
	s_or_b64 s[0:1], vcc, s[0:1]
	v_mov_b32_e32 v5, v1
	s_andn2_b64 exec, exec, s[0:1]
	s_cbranch_execnz .LBB44_69
; %bb.70:
	s_or_b64 exec, exec, s[0:1]
	global_load_dword v5, v[2:3], off offset:4
	s_mov_b64 s[0:1], 0
.LBB44_71:                              ; =>This Inner Loop Header: Depth=1
	s_waitcnt vmcnt(0)
	v_pk_add_f16 v4, v30, v5
	global_atomic_cmpswap v1, v[2:3], v[4:5], off offset:4 sc0
	s_waitcnt vmcnt(0)
	v_cmp_eq_u32_e32 vcc, v5, v1
	s_or_b64 s[0:1], vcc, s[0:1]
	v_mov_b32_e32 v5, v1
	s_andn2_b64 exec, exec, s[0:1]
	s_cbranch_execnz .LBB44_71
; %bb.72:
	s_or_b64 exec, exec, s[0:1]
	v_add_u32_e32 v0, s16, v0
	v_ashrrev_i32_e32 v1, 31, v0
	v_lshl_add_u64 v[2:3], v[0:1], 1, s[14:15]
	global_load_dword v5, v[2:3], off
	s_mov_b64 s[0:1], 0
.LBB44_73:                              ; =>This Inner Loop Header: Depth=1
	s_waitcnt vmcnt(0)
	v_pk_add_f16 v4, v29, v5
	global_atomic_cmpswap v1, v[2:3], v[4:5], off sc0
	s_waitcnt vmcnt(0)
	v_cmp_eq_u32_e32 vcc, v5, v1
	s_or_b64 s[0:1], vcc, s[0:1]
	v_mov_b32_e32 v5, v1
	s_andn2_b64 exec, exec, s[0:1]
	s_cbranch_execnz .LBB44_73
; %bb.74:
	s_or_b64 exec, exec, s[0:1]
	global_load_dword v5, v[2:3], off offset:4
	s_mov_b64 s[0:1], 0
.LBB44_75:                              ; =>This Inner Loop Header: Depth=1
	s_waitcnt vmcnt(0)
	v_pk_add_f16 v4, v28, v5
	global_atomic_cmpswap v1, v[2:3], v[4:5], off offset:4 sc0
	s_waitcnt vmcnt(0)
	v_cmp_eq_u32_e32 vcc, v5, v1
	s_or_b64 s[0:1], vcc, s[0:1]
	v_mov_b32_e32 v5, v1
	s_andn2_b64 exec, exec, s[0:1]
	s_cbranch_execnz .LBB44_75
; %bb.76:
	s_or_b64 exec, exec, s[0:1]
	v_add_u32_e32 v0, s16, v0
	v_ashrrev_i32_e32 v1, 31, v0
	v_lshl_add_u64 v[2:3], v[0:1], 1, s[14:15]
	global_load_dword v5, v[2:3], off
	s_mov_b64 s[0:1], 0
.LBB44_77:                              ; =>This Inner Loop Header: Depth=1
	s_waitcnt vmcnt(0)
	v_pk_add_f16 v4, v27, v5
	global_atomic_cmpswap v1, v[2:3], v[4:5], off sc0
	s_waitcnt vmcnt(0)
	v_cmp_eq_u32_e32 vcc, v5, v1
	s_or_b64 s[0:1], vcc, s[0:1]
	v_mov_b32_e32 v5, v1
	s_andn2_b64 exec, exec, s[0:1]
	s_cbranch_execnz .LBB44_77
; %bb.78:
	s_or_b64 exec, exec, s[0:1]
	global_load_dword v5, v[2:3], off offset:4
	s_mov_b64 s[0:1], 0
.LBB44_79:                              ; =>This Inner Loop Header: Depth=1
	s_waitcnt vmcnt(0)
	v_pk_add_f16 v4, v26, v5
	global_atomic_cmpswap v1, v[2:3], v[4:5], off offset:4 sc0
	s_waitcnt vmcnt(0)
	v_cmp_eq_u32_e32 vcc, v5, v1
	s_or_b64 s[0:1], vcc, s[0:1]
	v_mov_b32_e32 v5, v1
	s_andn2_b64 exec, exec, s[0:1]
	s_cbranch_execnz .LBB44_79
; %bb.80:
	s_or_b64 exec, exec, s[0:1]
	v_add_u32_e32 v0, s16, v0
	v_ashrrev_i32_e32 v1, 31, v0
	v_lshl_add_u64 v[2:3], v[0:1], 1, s[14:15]
	global_load_dword v5, v[2:3], off
	s_mov_b64 s[0:1], 0
.LBB44_81:                              ; =>This Inner Loop Header: Depth=1
	s_waitcnt vmcnt(0)
	v_pk_add_f16 v4, v25, v5
	global_atomic_cmpswap v1, v[2:3], v[4:5], off sc0
	s_waitcnt vmcnt(0)
	v_cmp_eq_u32_e32 vcc, v5, v1
	s_or_b64 s[0:1], vcc, s[0:1]
	v_mov_b32_e32 v5, v1
	s_andn2_b64 exec, exec, s[0:1]
	s_cbranch_execnz .LBB44_81
; %bb.82:
	s_or_b64 exec, exec, s[0:1]
	global_load_dword v5, v[2:3], off offset:4
	s_mov_b64 s[0:1], 0
.LBB44_83:                              ; =>This Inner Loop Header: Depth=1
	s_waitcnt vmcnt(0)
	v_pk_add_f16 v4, v24, v5
	global_atomic_cmpswap v1, v[2:3], v[4:5], off offset:4 sc0
	s_waitcnt vmcnt(0)
	v_cmp_eq_u32_e32 vcc, v5, v1
	s_or_b64 s[0:1], vcc, s[0:1]
	v_mov_b32_e32 v5, v1
	s_andn2_b64 exec, exec, s[0:1]
	s_cbranch_execnz .LBB44_83
; %bb.84:
	s_or_b64 exec, exec, s[0:1]
	v_add_u32_e32 v0, s16, v0
	v_ashrrev_i32_e32 v1, 31, v0
	v_lshl_add_u64 v[0:1], v[0:1], 1, s[14:15]
	global_load_dword v3, v[0:1], off
	s_mov_b64 s[0:1], 0
.LBB44_85:                              ; =>This Inner Loop Header: Depth=1
	s_waitcnt vmcnt(0)
	v_pk_add_f16 v2, v15, v3
	global_atomic_cmpswap v2, v[0:1], v[2:3], off sc0
	s_waitcnt vmcnt(0)
	v_cmp_eq_u32_e32 vcc, v3, v2
	s_or_b64 s[0:1], vcc, s[0:1]
	v_mov_b32_e32 v3, v2
	s_andn2_b64 exec, exec, s[0:1]
	s_cbranch_execnz .LBB44_85
; %bb.86:
	s_or_b64 exec, exec, s[0:1]
	global_load_dword v3, v[0:1], off offset:4
	s_mov_b64 s[0:1], 0
.LBB44_87:                              ; =>This Inner Loop Header: Depth=1
	s_waitcnt vmcnt(0)
	v_pk_add_f16 v2, v13, v3
	global_atomic_cmpswap v2, v[0:1], v[2:3], off offset:4 sc0
	s_waitcnt vmcnt(0)
	v_cmp_eq_u32_e32 vcc, v3, v2
	s_or_b64 s[0:1], vcc, s[0:1]
	v_mov_b32_e32 v3, v2
	s_andn2_b64 exec, exec, s[0:1]
	s_cbranch_execnz .LBB44_87
.LBB44_88:
	s_endpgm
	.section	.rodata,"a",@progbits
	.p2align	6, 0x0
	.amdhsa_kernel _ZN4vllm4gptq33gemm_half_q_half_gptq_3bit_kernelILb1ELi8EEEvPK6__halfPKjS6_S4_PS2_iiiibPKi
		.amdhsa_group_segment_fixed_size 2048
		.amdhsa_private_segment_fixed_size 48
		.amdhsa_kernarg_size 72
		.amdhsa_user_sgpr_count 2
		.amdhsa_user_sgpr_dispatch_ptr 0
		.amdhsa_user_sgpr_queue_ptr 0
		.amdhsa_user_sgpr_kernarg_segment_ptr 1
		.amdhsa_user_sgpr_dispatch_id 0
		.amdhsa_user_sgpr_kernarg_preload_length 0
		.amdhsa_user_sgpr_kernarg_preload_offset 0
		.amdhsa_user_sgpr_private_segment_size 0
		.amdhsa_uses_dynamic_stack 0
		.amdhsa_enable_private_segment 1
		.amdhsa_system_sgpr_workgroup_id_x 1
		.amdhsa_system_sgpr_workgroup_id_y 1
		.amdhsa_system_sgpr_workgroup_id_z 1
		.amdhsa_system_sgpr_workgroup_info 0
		.amdhsa_system_vgpr_workitem_id 0
		.amdhsa_next_free_vgpr 128
		.amdhsa_next_free_sgpr 40
		.amdhsa_accum_offset 128
		.amdhsa_reserve_vcc 1
		.amdhsa_float_round_mode_32 0
		.amdhsa_float_round_mode_16_64 0
		.amdhsa_float_denorm_mode_32 3
		.amdhsa_float_denorm_mode_16_64 3
		.amdhsa_dx10_clamp 1
		.amdhsa_ieee_mode 1
		.amdhsa_fp16_overflow 0
		.amdhsa_tg_split 0
		.amdhsa_exception_fp_ieee_invalid_op 0
		.amdhsa_exception_fp_denorm_src 0
		.amdhsa_exception_fp_ieee_div_zero 0
		.amdhsa_exception_fp_ieee_overflow 0
		.amdhsa_exception_fp_ieee_underflow 0
		.amdhsa_exception_fp_ieee_inexact 0
		.amdhsa_exception_int_div_zero 0
	.end_amdhsa_kernel
	.section	.text._ZN4vllm4gptq33gemm_half_q_half_gptq_3bit_kernelILb1ELi8EEEvPK6__halfPKjS6_S4_PS2_iiiibPKi,"axG",@progbits,_ZN4vllm4gptq33gemm_half_q_half_gptq_3bit_kernelILb1ELi8EEEvPK6__halfPKjS6_S4_PS2_iiiibPKi,comdat
.Lfunc_end44:
	.size	_ZN4vllm4gptq33gemm_half_q_half_gptq_3bit_kernelILb1ELi8EEEvPK6__halfPKjS6_S4_PS2_iiiibPKi, .Lfunc_end44-_ZN4vllm4gptq33gemm_half_q_half_gptq_3bit_kernelILb1ELi8EEEvPK6__halfPKjS6_S4_PS2_iiiibPKi
                                        ; -- End function
	.set _ZN4vllm4gptq33gemm_half_q_half_gptq_3bit_kernelILb1ELi8EEEvPK6__halfPKjS6_S4_PS2_iiiibPKi.num_vgpr, 128
	.set _ZN4vllm4gptq33gemm_half_q_half_gptq_3bit_kernelILb1ELi8EEEvPK6__halfPKjS6_S4_PS2_iiiibPKi.num_agpr, 0
	.set _ZN4vllm4gptq33gemm_half_q_half_gptq_3bit_kernelILb1ELi8EEEvPK6__halfPKjS6_S4_PS2_iiiibPKi.numbered_sgpr, 40
	.set _ZN4vllm4gptq33gemm_half_q_half_gptq_3bit_kernelILb1ELi8EEEvPK6__halfPKjS6_S4_PS2_iiiibPKi.num_named_barrier, 0
	.set _ZN4vllm4gptq33gemm_half_q_half_gptq_3bit_kernelILb1ELi8EEEvPK6__halfPKjS6_S4_PS2_iiiibPKi.private_seg_size, 48
	.set _ZN4vllm4gptq33gemm_half_q_half_gptq_3bit_kernelILb1ELi8EEEvPK6__halfPKjS6_S4_PS2_iiiibPKi.uses_vcc, 1
	.set _ZN4vllm4gptq33gemm_half_q_half_gptq_3bit_kernelILb1ELi8EEEvPK6__halfPKjS6_S4_PS2_iiiibPKi.uses_flat_scratch, 0
	.set _ZN4vllm4gptq33gemm_half_q_half_gptq_3bit_kernelILb1ELi8EEEvPK6__halfPKjS6_S4_PS2_iiiibPKi.has_dyn_sized_stack, 0
	.set _ZN4vllm4gptq33gemm_half_q_half_gptq_3bit_kernelILb1ELi8EEEvPK6__halfPKjS6_S4_PS2_iiiibPKi.has_recursion, 0
	.set _ZN4vllm4gptq33gemm_half_q_half_gptq_3bit_kernelILb1ELi8EEEvPK6__halfPKjS6_S4_PS2_iiiibPKi.has_indirect_call, 0
	.section	.AMDGPU.csdata,"",@progbits
; Kernel info:
; codeLenInByte = 11688
; TotalNumSgprs: 46
; NumVgprs: 128
; NumAgprs: 0
; TotalNumVgprs: 128
; ScratchSize: 48
; MemoryBound: 0
; FloatMode: 240
; IeeeMode: 1
; LDSByteSize: 2048 bytes/workgroup (compile time only)
; SGPRBlocks: 5
; VGPRBlocks: 15
; NumSGPRsForWavesPerEU: 46
; NumVGPRsForWavesPerEU: 128
; AccumOffset: 128
; Occupancy: 4
; WaveLimiterHint : 0
; COMPUTE_PGM_RSRC2:SCRATCH_EN: 1
; COMPUTE_PGM_RSRC2:USER_SGPR: 2
; COMPUTE_PGM_RSRC2:TRAP_HANDLER: 0
; COMPUTE_PGM_RSRC2:TGID_X_EN: 1
; COMPUTE_PGM_RSRC2:TGID_Y_EN: 1
; COMPUTE_PGM_RSRC2:TGID_Z_EN: 1
; COMPUTE_PGM_RSRC2:TIDIG_COMP_CNT: 0
; COMPUTE_PGM_RSRC3_GFX90A:ACCUM_OFFSET: 31
; COMPUTE_PGM_RSRC3_GFX90A:TG_SPLIT: 0
	.section	.text._ZN4vllm4gptq33gemm_half_q_half_gptq_4bit_kernelILb1ELi8EEEvPK6__halfPKjS6_S4_PS2_iiiibPKi,"axG",@progbits,_ZN4vllm4gptq33gemm_half_q_half_gptq_4bit_kernelILb1ELi8EEEvPK6__halfPKjS6_S4_PS2_iiiibPKi,comdat
	.protected	_ZN4vllm4gptq33gemm_half_q_half_gptq_4bit_kernelILb1ELi8EEEvPK6__halfPKjS6_S4_PS2_iiiibPKi ; -- Begin function _ZN4vllm4gptq33gemm_half_q_half_gptq_4bit_kernelILb1ELi8EEEvPK6__halfPKjS6_S4_PS2_iiiibPKi
	.globl	_ZN4vllm4gptq33gemm_half_q_half_gptq_4bit_kernelILb1ELi8EEEvPK6__halfPKjS6_S4_PS2_iiiibPKi
	.p2align	8
	.type	_ZN4vllm4gptq33gemm_half_q_half_gptq_4bit_kernelILb1ELi8EEEvPK6__halfPKjS6_S4_PS2_iiiibPKi,@function
_ZN4vllm4gptq33gemm_half_q_half_gptq_4bit_kernelILb1ELi8EEEvPK6__halfPKjS6_S4_PS2_iiiibPKi: ; @_ZN4vllm4gptq33gemm_half_q_half_gptq_4bit_kernelILb1ELi8EEEvPK6__halfPKjS6_S4_PS2_iiiibPKi
; %bb.0:
	s_load_dwordx8 s[8:15], s[0:1], 0x8
	s_load_dwordx4 s[16:19], s[0:1], 0x2c
	s_lshl_b32 s25, s4, 7
	s_lshl_b32 s24, s3, 3
	s_add_i32 s3, s25, 0x80
	v_cvt_f64_u32_e32 v[2:3], s3
	s_waitcnt lgkmcnt(0)
	v_cvt_f64_i32_e32 v[4:5], s17
	v_min_f64 v[2:3], v[2:3], v[4:5]
	v_cvt_i32_f64_e32 v1, v[2:3]
	v_add_u32_e32 v2, s25, v0
	v_readfirstlane_b32 s26, v1
	v_cmp_lt_u32_e32 vcc, v2, v1
	s_and_saveexec_b64 s[4:5], vcc
	s_cbranch_execz .LBB45_18
; %bb.1:
	s_load_dwordx2 s[22:23], s[0:1], 0x40
	s_load_dwordx2 s[6:7], s[0:1], 0x0
	v_mov_b32_e32 v3, 0
	v_mov_b64_e32 v[6:7], v[2:3]
	s_waitcnt lgkmcnt(0)
	s_cmp_lg_u64 s[22:23], 0
	s_cselect_b64 s[20:21], -1, 0
	s_cmp_eq_u64 s[22:23], 0
	v_lshl_add_u64 v[4:5], v[2:3], 2, s[22:23]
	s_cbranch_scc1 .LBB45_3
; %bb.2:
	global_load_dword v6, v[4:5], off
	s_waitcnt vmcnt(0)
	v_ashrrev_i32_e32 v7, 31, v6
.LBB45_3:
	s_mul_i32 s22, s24, s17
	s_ashr_i32 s23, s22, 31
	s_lshl_b64 s[0:1], s[22:23], 1
	s_add_u32 s0, s6, s0
	s_addc_u32 s1, s7, s1
	v_lshl_add_u64 v[6:7], v[6:7], 1, s[0:1]
	global_load_ushort v6, v[6:7], off
	v_lshlrev_b32_e32 v1, 1, v0
	v_cndmask_b32_e64 v7, 0, 1, s[20:21]
	v_cmp_ne_u32_e64 s[0:1], 1, v7
	s_andn2_b64 vcc, exec, s[20:21]
	s_waitcnt vmcnt(0)
	ds_write_b16 v1, v6
	v_mov_b64_e32 v[6:7], v[2:3]
	s_cbranch_vccnz .LBB45_5
; %bb.4:
	global_load_dword v6, v[4:5], off
	s_waitcnt vmcnt(0)
	v_ashrrev_i32_e32 v7, 31, v6
.LBB45_5:
	s_add_i32 s20, s22, s17
	s_ashr_i32 s21, s20, 31
	s_lshl_b64 s[22:23], s[20:21], 1
	s_add_u32 s22, s6, s22
	s_addc_u32 s23, s7, s23
	v_lshl_add_u64 v[6:7], v[6:7], 1, s[22:23]
	global_load_ushort v6, v[6:7], off
	s_and_b64 vcc, exec, s[0:1]
	s_waitcnt vmcnt(0)
	ds_write_b16 v1, v6 offset:256
	v_mov_b64_e32 v[6:7], v[2:3]
	s_cbranch_vccnz .LBB45_7
; %bb.6:
	global_load_dword v6, v[4:5], off
	s_waitcnt vmcnt(0)
	v_ashrrev_i32_e32 v7, 31, v6
.LBB45_7:
	s_add_i32 s20, s20, s17
	s_ashr_i32 s21, s20, 31
	s_lshl_b64 s[22:23], s[20:21], 1
	s_add_u32 s22, s6, s22
	s_addc_u32 s23, s7, s23
	v_lshl_add_u64 v[6:7], v[6:7], 1, s[22:23]
	global_load_ushort v6, v[6:7], off
	s_and_b64 vcc, exec, s[0:1]
	s_waitcnt vmcnt(0)
	ds_write_b16 v1, v6 offset:512
	;; [unrolled: 17-line block ×6, first 2 shown]
	s_cbranch_vccnz .LBB45_17
; %bb.16:
	global_load_dword v2, v[4:5], off
	s_waitcnt vmcnt(0)
	v_ashrrev_i32_e32 v3, 31, v2
.LBB45_17:
	s_add_i32 s0, s20, s17
	s_ashr_i32 s1, s0, 31
	s_lshl_b64 s[0:1], s[0:1], 1
	s_add_u32 s0, s6, s0
	s_addc_u32 s1, s7, s1
	v_lshl_add_u64 v[2:3], v[2:3], 1, s[0:1]
	global_load_ushort v2, v[2:3], off
	s_waitcnt vmcnt(0)
	ds_write_b16 v1, v2 offset:1792
.LBB45_18:
	s_or_b64 exec, exec, s[4:5]
	v_lshlrev_b32_e32 v1, 2, v0
	v_lshl_add_u32 v4, s2, 9, v1
	v_cmp_gt_i32_e32 vcc, s16, v4
	s_and_saveexec_b64 s[0:1], vcc
	s_cbranch_execz .LBB45_56
; %bb.19:
	s_abs_i32 s0, s18
	v_cvt_f32_u32_e32 v1, s0
	v_mov_b32_e32 v7, 0
	s_cmp_ge_i32 s25, s26
	v_mov_b32_e32 v6, v7
	v_rcp_iflag_f32_e32 v1, v1
	v_mov_b32_e32 v32, v7
	v_mov_b32_e32 v17, v7
	;; [unrolled: 1-line block ×3, first 2 shown]
	v_mul_f32_e32 v1, 0x4f7ffffe, v1
	v_cvt_u32_f32_e32 v1, v1
	v_mov_b32_e32 v34, v7
	v_mov_b32_e32 v37, v7
	;; [unrolled: 1-line block ×3, first 2 shown]
	v_readfirstlane_b32 s1, v1
	v_mov_b32_e32 v40, v7
	v_mov_b32_e32 v35, v7
	;; [unrolled: 1-line block ×24, first 2 shown]
	s_waitcnt lgkmcnt(0)
	s_barrier
	s_cbranch_scc1 .LBB45_24
; %bb.20:
	s_sub_i32 s5, 0, s0
	s_mul_i32 s5, s5, s1
	s_mul_hi_u32 s5, s1, s5
	s_abs_i32 s4, s17
	s_add_i32 s1, s1, s5
	s_ashr_i32 s2, s17, 31
	s_ashr_i32 s3, s18, 31
	s_mul_hi_u32 s1, s4, s1
	s_xor_b32 s2, s2, s3
	s_mul_i32 s3, s1, s0
	s_sub_i32 s3, s4, s3
	s_add_i32 s4, s1, 1
	s_sub_i32 s5, s3, s0
	s_cmp_ge_u32 s3, s0
	s_cselect_b32 s1, s4, s1
	s_cselect_b32 s3, s5, s3
	s_add_i32 s4, s1, 1
	s_cmp_ge_u32 s3, s0
	s_cselect_b32 s0, s4, s1
	s_xor_b32 s0, s0, s2
	s_sub_i32 s4, s0, s2
	v_cvt_f32_u32_e32 v1, s4
	s_bitcmp1_b32 s19, 0
	s_cselect_b64 s[0:1], -1, 0
	s_sub_i32 s2, 0, s4
	v_rcp_iflag_f32_e32 v1, v1
	s_xor_b64 s[0:1], s[0:1], -1
	v_ashrrev_i32_e32 v5, 31, v4
	v_lshrrev_b32_e32 v2, 29, v5
	v_mul_f32_e32 v1, 0x4f7ffffe, v1
	v_cvt_u32_f32_e32 v1, v1
	v_add_u32_e32 v2, v4, v2
	v_ashrrev_i32_e32 v55, 3, v2
	v_cndmask_b32_e64 v64, 0, 1, s[0:1]
	v_readfirstlane_b32 s3, v1
	s_mul_i32 s2, s2, s3
	s_mul_hi_u32 s2, s3, s2
	s_add_i32 s3, s3, s2
	s_mul_hi_u32 s2, s25, s3
	s_mul_i32 s3, s2, s4
	s_sub_i32 s3, s25, s3
	s_add_i32 s5, s2, 1
	s_sub_i32 s6, s3, s4
	s_cmp_ge_u32 s3, s4
	s_cselect_b32 s2, s5, s2
	s_cselect_b32 s3, s6, s3
	s_add_i32 s5, s2, 1
	s_cmp_ge_u32 s3, s4
	s_cselect_b32 s5, s5, s2
	s_mul_i32 s2, s5, s16
	s_ashr_i32 s3, s2, 31
	s_lshr_b32 s3, s3, 29
	s_add_i32 s3, s2, s3
	s_ashr_i32 s3, s3, 3
	v_add_u32_e32 v6, s3, v55
	v_add_u32_e32 v2, s2, v4
	v_ashrrev_i32_e32 v7, 31, v6
	v_ashrrev_i32_e32 v3, 31, v2
	v_lshl_add_u64 v[6:7], v[6:7], 2, s[10:11]
	v_lshl_add_u64 v[2:3], v[2:3], 1, s[12:13]
	global_load_dword v1, v[6:7], off
	s_lshr_b32 s0, s25, 3
	global_load_dwordx2 v[2:3], v[2:3], off
	s_mul_i32 s0, s16, s0
	s_ashr_i32 s1, s0, 31
	s_lshl_b64 s[0:1], s[0:1], 2
	v_lshlrev_b32_e32 v0, 4, v0
	s_add_u32 s0, s8, s0
	v_and_b32_e32 v63, 16, v0
	s_addc_u32 s1, s9, s1
	v_lshl_add_u64 v[8:9], v[4:5], 2, s[0:1]
	s_mov_b32 s18, 0x10001
	v_mov_b32_e32 v62, 0xe400e400
	s_mov_b32 s7, 0xd400
	v_mov_b32_e32 v6, 0
	s_ashr_i32 s17, s16, 31
	s_mov_b32 s6, 0
	s_movk_i32 s19, 0x2c00
	v_mov_b32_e32 v7, v6
	v_mov_b32_e32 v60, v6
	v_mov_b32_e32 v61, v6
	v_mov_b32_e32 v58, v6
	v_mov_b32_e32 v59, v6
	v_mov_b32_e32 v56, v6
	v_mov_b32_e32 v57, v6
	v_mov_b32_e32 v53, v6
	v_mov_b32_e32 v54, v6
	v_mov_b32_e32 v51, v6
	v_mov_b32_e32 v52, v6
	v_mov_b32_e32 v49, v6
	v_mov_b32_e32 v50, v6
	v_mov_b32_e32 v47, v6
	v_mov_b32_e32 v48, v6
	v_mov_b32_e32 v45, v6
	v_mov_b32_e32 v46, v6
	v_mov_b32_e32 v43, v6
	v_mov_b32_e32 v44, v6
	v_mov_b32_e32 v41, v6
	v_mov_b32_e32 v42, v6
	v_mov_b32_e32 v38, v6
	v_mov_b32_e32 v39, v6
	v_mov_b32_e32 v35, v6
	s_add_i32 s8, s4, s25
	s_lshl_b64 s[0:1], s[16:17], 4
	s_lshl_b64 s[2:3], s[16:17], 2
	v_mov_b32_e32 v40, v6
	v_mov_b32_e32 v36, v6
	;; [unrolled: 1-line block ×7, first 2 shown]
	s_waitcnt vmcnt(1)
	v_lshrrev_b32_e32 v0, v0, v1
	v_lshrrev_b32_e32 v1, 12, v0
	s_waitcnt vmcnt(0)
	v_cvt_f32_f16_e32 v12, v3
	v_cvt_f32_f16_sdwa v13, v3 dst_sel:DWORD dst_unused:UNUSED_PAD src0_sel:WORD_1
	v_cvt_f32_f16_e32 v10, v2
	v_cvt_f32_f16_sdwa v5, v2 dst_sel:DWORD dst_unused:UNUSED_PAD src0_sel:WORD_1
	v_lshrrev_b32_e32 v2, 8, v0
	v_lshrrev_b32_e32 v3, 4, v0
	v_and_b32_e32 v0, 15, v0
	v_and_b32_e32 v1, 15, v1
	;; [unrolled: 1-line block ×4, first 2 shown]
	v_add_u32_e32 v0, v0, v64
	v_add_u32_e32 v2, v2, v64
	;; [unrolled: 1-line block ×4, first 2 shown]
	v_cvt_f32_ubyte0_e32 v11, v0
	v_mad_u32_u24 v65, v0, s18, v62
	v_cvt_f32_ubyte0_e32 v0, v1
	v_cvt_f32_ubyte0_e32 v14, v2
	v_mad_u32_u24 v68, v1, s18, v62
	v_cvt_f32_ubyte0_e32 v1, v3
	v_cvt_pk_f16_f32 v0, v14, v0
	v_cvt_pk_f16_f32 v1, v11, v1
	v_pk_add_f16 v0, v0, s7 op_sel_hi:[1,0] neg_lo:[1,0] neg_hi:[1,0]
	v_pk_add_f16 v1, v1, s7 op_sel_hi:[1,0] neg_lo:[1,0] neg_hi:[1,0]
	v_mad_u32_u24 v66, v2, s18, v62
	v_mad_u32_u24 v67, v3, s18, v62
	v_mul_u32_u24_sdwa v16, v0, s18 dst_sel:DWORD dst_unused:UNUSED_PAD src0_sel:WORD_0 src1_sel:DWORD
	v_mul_u32_u24_sdwa v15, v0, s18 dst_sel:DWORD dst_unused:UNUSED_PAD src0_sel:WORD_1 src1_sel:DWORD
	v_mul_u32_u24_sdwa v14, v1, s18 dst_sel:DWORD dst_unused:UNUSED_PAD src0_sel:WORD_0 src1_sel:DWORD
	v_mul_u32_u24_sdwa v11, v1, s18 dst_sel:DWORD dst_unused:UNUSED_PAD src0_sel:WORD_1 src1_sel:DWORD
	s_branch .LBB45_22
.LBB45_21:                              ;   in Loop: Header=BB45_22 Depth=1
	global_load_dwordx4 v[24:27], v[8:9], off
	s_add_i32 s9, s6, 0x400
	s_add_i32 s25, s25, 32
	s_waitcnt vmcnt(0)
	v_lshrrev_b32_e32 v2, 8, v24
	v_and_b32_e32 v0, 0xf000f, v24
	v_and_b32_e32 v1, 0xf000f0, v24
	;; [unrolled: 1-line block ×4, first 2 shown]
	v_lshrrev_b32_e32 v20, 8, v25
	v_or_b32_e32 v0, 0x64006400, v0
	v_or_b32_e32 v1, 0x64006400, v1
	v_or_b32_e32 v18, 0x64006400, v3
	v_or_b32_e32 v19, 0x64006400, v2
	v_and_b32_e32 v21, 0xf000f, v20
	v_and_b32_e32 v20, 0xf000f0, v20
	v_lshrrev_b32_e32 v24, 8, v26
	v_pk_add_f16 v3, v65, v0
	v_pk_fma_f16 v2, v1, s19, v14 op_sel_hi:[1,0,1]
	v_pk_add_f16 v0, v65, v18
	v_pk_fma_f16 v1, v19, s19, v14 op_sel_hi:[1,0,1]
	v_and_b32_e32 v18, 0xf000f, v25
	v_and_b32_e32 v19, 0xf000f0, v25
	v_or_b32_e32 v21, 0x64006400, v21
	v_or_b32_e32 v22, 0x64006400, v20
	v_and_b32_e32 v25, 0xf000f, v24
	v_and_b32_e32 v24, 0xf000f0, v24
	v_pk_add_f16 v20, v67, v21
	v_pk_fma_f16 v21, v22, s19, v11 op_sel_hi:[1,0,1]
	v_and_b32_e32 v22, 0xf000f, v26
	v_and_b32_e32 v23, 0xf000f0, v26
	v_or_b32_e32 v25, 0x64006400, v25
	v_or_b32_e32 v26, 0x64006400, v24
	v_pk_add_f16 v24, v66, v25
	v_pk_fma_f16 v25, v26, s19, v16 op_sel_hi:[1,0,1]
	v_and_b32_e32 v26, 0xf000f, v27
	v_and_b32_e32 v28, 0xf000f0, v27
	v_lshrrev_b32_e32 v27, 8, v27
	v_or_b32_e32 v28, 0x64006400, v28
	v_and_b32_e32 v29, 0xf000f, v27
	v_and_b32_e32 v27, 0xf000f0, v27
	v_or_b32_e32 v30, 0x64006400, v27
	v_pk_fma_f16 v27, v28, s19, v15 op_sel_hi:[1,0,1]
	v_mov_b32_e32 v28, s6
	ds_read2_b32 v[70:71], v28 offset1:1
	ds_read2_b32 v[72:73], v28 offset0:2 offset1:3
	v_or_b32_e32 v18, 0x64006400, v18
	v_or_b32_e32 v19, 0x64006400, v19
	v_pk_add_f16 v18, v67, v18
	s_waitcnt lgkmcnt(1)
	v_pk_fma_f16 v31, v3, v70, 0
	v_pk_fma_f16 v19, v19, s19, v11 op_sel_hi:[1,0,1]
	v_pk_fma_f16 v31, v2, v71, v31
	v_or_b32_e32 v22, 0x64006400, v22
	s_waitcnt lgkmcnt(0)
	v_pk_fma_f16 v31, v0, v72, v31
	v_or_b32_e32 v23, 0x64006400, v23
	v_pk_fma_f16 v31, v1, v73, v31
	v_pk_add_f16 v22, v66, v22
	v_cvt_f32_f16_e32 v69, v31
	v_cvt_f32_f16_sdwa v31, v31 dst_sel:DWORD dst_unused:UNUSED_PAD src0_sel:WORD_1
	v_pk_fma_f16 v23, v23, s19, v16 op_sel_hi:[1,0,1]
	v_or_b32_e32 v26, 0x64006400, v26
	v_pk_add_f16 v26, v68, v26
	v_add_f32_e32 v31, v31, v69
	v_fmac_f32_e32 v60, v31, v10
	v_pk_fma_f16 v31, v18, v70, 0
	v_or_b32_e32 v29, 0x64006400, v29
	v_pk_fma_f16 v31, v19, v71, v31
	v_pk_add_f16 v29, v68, v29
	v_pk_fma_f16 v31, v20, v72, v31
	v_pk_fma_f16 v30, v30, s19, v15 op_sel_hi:[1,0,1]
	v_pk_fma_f16 v31, v21, v73, v31
	s_nop 0
	v_cvt_f32_f16_e32 v69, v31
	v_cvt_f32_f16_sdwa v31, v31 dst_sel:DWORD dst_unused:UNUSED_PAD src0_sel:WORD_1
	v_add_f32_e32 v31, v31, v69
	v_fmac_f32_e32 v61, v31, v5
	v_pk_fma_f16 v31, v22, v70, 0
	s_nop 0
	v_pk_fma_f16 v31, v23, v71, v31
	s_nop 0
	v_pk_fma_f16 v31, v24, v72, v31
	s_nop 0
	v_pk_fma_f16 v31, v25, v73, v31
	s_nop 0
	v_cvt_f32_f16_e32 v69, v31
	v_cvt_f32_f16_sdwa v31, v31 dst_sel:DWORD dst_unused:UNUSED_PAD src0_sel:WORD_1
	v_add_f32_e32 v31, v31, v69
	v_fmac_f32_e32 v58, v31, v12
	v_pk_fma_f16 v31, v26, v70, 0
	s_nop 0
	v_pk_fma_f16 v31, v27, v71, v31
	ds_read2_b32 v[70:71], v28 offset0:64 offset1:65
	v_pk_fma_f16 v31, v29, v72, v31
	s_nop 0
	v_pk_fma_f16 v31, v30, v73, v31
	ds_read2_b32 v[72:73], v28 offset0:66 offset1:67
	v_cvt_f32_f16_e32 v69, v31
	v_cvt_f32_f16_sdwa v31, v31 dst_sel:DWORD dst_unused:UNUSED_PAD src0_sel:WORD_1
	v_add_f32_e32 v31, v31, v69
	v_fmac_f32_e32 v59, v31, v13
	s_waitcnt lgkmcnt(1)
	v_pk_fma_f16 v31, v3, v70, 0
	s_nop 0
	v_pk_fma_f16 v31, v2, v71, v31
	s_waitcnt lgkmcnt(0)
	v_pk_fma_f16 v31, v0, v72, v31
	s_nop 0
	v_pk_fma_f16 v31, v1, v73, v31
	s_nop 0
	v_cvt_f32_f16_e32 v69, v31
	v_cvt_f32_f16_sdwa v31, v31 dst_sel:DWORD dst_unused:UNUSED_PAD src0_sel:WORD_1
	v_add_f32_e32 v31, v31, v69
	v_fmac_f32_e32 v56, v31, v10
	v_pk_fma_f16 v31, v18, v70, 0
	s_nop 0
	v_pk_fma_f16 v31, v19, v71, v31
	s_nop 0
	v_pk_fma_f16 v31, v20, v72, v31
	s_nop 0
	v_pk_fma_f16 v31, v21, v73, v31
	s_nop 0
	v_cvt_f32_f16_e32 v69, v31
	v_cvt_f32_f16_sdwa v31, v31 dst_sel:DWORD dst_unused:UNUSED_PAD src0_sel:WORD_1
	v_add_f32_e32 v31, v31, v69
	v_fmac_f32_e32 v57, v31, v5
	v_pk_fma_f16 v31, v22, v70, 0
	s_nop 0
	v_pk_fma_f16 v31, v23, v71, v31
	s_nop 0
	v_pk_fma_f16 v31, v24, v72, v31
	s_nop 0
	v_pk_fma_f16 v31, v25, v73, v31
	s_nop 0
	v_cvt_f32_f16_e32 v69, v31
	v_cvt_f32_f16_sdwa v31, v31 dst_sel:DWORD dst_unused:UNUSED_PAD src0_sel:WORD_1
	v_add_f32_e32 v31, v31, v69
	v_fmac_f32_e32 v53, v31, v12
	v_pk_fma_f16 v31, v26, v70, 0
	s_nop 0
	v_pk_fma_f16 v31, v27, v71, v31
	ds_read2_b32 v[70:71], v28 offset0:128 offset1:129
	v_pk_fma_f16 v31, v29, v72, v31
	s_nop 0
	v_pk_fma_f16 v31, v30, v73, v31
	ds_read2_b32 v[72:73], v28 offset0:130 offset1:131
	v_cvt_f32_f16_e32 v69, v31
	v_cvt_f32_f16_sdwa v31, v31 dst_sel:DWORD dst_unused:UNUSED_PAD src0_sel:WORD_1
	v_add_f32_e32 v31, v31, v69
	v_fmac_f32_e32 v54, v31, v13
	s_waitcnt lgkmcnt(1)
	v_pk_fma_f16 v31, v3, v70, 0
	s_nop 0
	v_pk_fma_f16 v31, v2, v71, v31
	s_waitcnt lgkmcnt(0)
	v_pk_fma_f16 v31, v0, v72, v31
	s_nop 0
	v_pk_fma_f16 v31, v1, v73, v31
	s_nop 0
	v_cvt_f32_f16_e32 v69, v31
	v_cvt_f32_f16_sdwa v31, v31 dst_sel:DWORD dst_unused:UNUSED_PAD src0_sel:WORD_1
	v_add_f32_e32 v31, v31, v69
	v_fmac_f32_e32 v51, v31, v10
	v_pk_fma_f16 v31, v18, v70, 0
	s_nop 0
	v_pk_fma_f16 v31, v19, v71, v31
	s_nop 0
	v_pk_fma_f16 v31, v20, v72, v31
	s_nop 0
	;; [unrolled: 49-line block ×3, first 2 shown]
	v_pk_fma_f16 v31, v21, v73, v31
	s_nop 0
	v_cvt_f32_f16_e32 v69, v31
	v_cvt_f32_f16_sdwa v31, v31 dst_sel:DWORD dst_unused:UNUSED_PAD src0_sel:WORD_1
	v_add_f32_e32 v31, v31, v69
	v_fmac_f32_e32 v48, v31, v5
	v_pk_fma_f16 v31, v22, v70, 0
	s_nop 0
	v_pk_fma_f16 v31, v23, v71, v31
	s_nop 0
	v_pk_fma_f16 v31, v24, v72, v31
	s_nop 0
	v_pk_fma_f16 v31, v25, v73, v31
	s_nop 0
	v_cvt_f32_f16_e32 v69, v31
	v_cvt_f32_f16_sdwa v31, v31 dst_sel:DWORD dst_unused:UNUSED_PAD src0_sel:WORD_1
	v_add_f32_e32 v31, v31, v69
	v_fmac_f32_e32 v45, v31, v12
	v_pk_fma_f16 v31, v26, v70, 0
	s_nop 0
	v_pk_fma_f16 v31, v27, v71, v31
	s_nop 0
	v_pk_fma_f16 v31, v29, v72, v31
	s_nop 0
	v_pk_fma_f16 v31, v30, v73, v31
	s_nop 0
	v_cvt_f32_f16_e32 v69, v31
	v_cvt_f32_f16_sdwa v31, v31 dst_sel:DWORD dst_unused:UNUSED_PAD src0_sel:WORD_1
	v_add_f32_e32 v31, v31, v69
	v_fmac_f32_e32 v46, v31, v13
	v_mov_b32_e32 v31, s9
	ds_read2_b32 v[70:71], v31 offset1:1
	s_add_i32 s9, s6, 0x408
	v_mov_b32_e32 v69, s9
	ds_read2_b32 v[72:73], v69 offset1:1
	s_add_i32 s9, s6, 0x500
	s_waitcnt lgkmcnt(1)
	v_pk_fma_f16 v31, v3, v70, 0
	s_nop 0
	v_pk_fma_f16 v31, v2, v71, v31
	s_waitcnt lgkmcnt(0)
	v_pk_fma_f16 v31, v0, v72, v31
	s_nop 0
	v_pk_fma_f16 v31, v1, v73, v31
	s_nop 0
	v_cvt_f32_f16_e32 v69, v31
	v_cvt_f32_f16_sdwa v31, v31 dst_sel:DWORD dst_unused:UNUSED_PAD src0_sel:WORD_1
	v_add_f32_e32 v31, v31, v69
	v_fmac_f32_e32 v43, v31, v10
	v_pk_fma_f16 v31, v18, v70, 0
	s_nop 0
	v_pk_fma_f16 v31, v19, v71, v31
	s_nop 0
	v_pk_fma_f16 v31, v20, v72, v31
	s_nop 0
	v_pk_fma_f16 v31, v21, v73, v31
	s_nop 0
	v_cvt_f32_f16_e32 v69, v31
	v_cvt_f32_f16_sdwa v31, v31 dst_sel:DWORD dst_unused:UNUSED_PAD src0_sel:WORD_1
	v_add_f32_e32 v31, v31, v69
	v_fmac_f32_e32 v44, v31, v5
	v_pk_fma_f16 v31, v22, v70, 0
	s_nop 0
	v_pk_fma_f16 v31, v23, v71, v31
	s_nop 0
	v_pk_fma_f16 v31, v24, v72, v31
	s_nop 0
	v_pk_fma_f16 v31, v25, v73, v31
	s_nop 0
	v_cvt_f32_f16_e32 v69, v31
	v_cvt_f32_f16_sdwa v31, v31 dst_sel:DWORD dst_unused:UNUSED_PAD src0_sel:WORD_1
	v_add_f32_e32 v31, v31, v69
	v_fmac_f32_e32 v41, v31, v12
	v_pk_fma_f16 v31, v26, v70, 0
	s_nop 0
	v_pk_fma_f16 v31, v27, v71, v31
	s_nop 0
	v_pk_fma_f16 v31, v29, v72, v31
	s_nop 0
	v_pk_fma_f16 v31, v30, v73, v31
	s_nop 0
	v_cvt_f32_f16_e32 v69, v31
	v_cvt_f32_f16_sdwa v31, v31 dst_sel:DWORD dst_unused:UNUSED_PAD src0_sel:WORD_1
	v_add_f32_e32 v31, v31, v69
	v_fmac_f32_e32 v42, v31, v13
	v_mov_b32_e32 v31, s9
	ds_read2_b32 v[70:71], v31 offset1:1
	s_add_i32 s9, s6, 0x508
	v_mov_b32_e32 v69, s9
	ds_read2_b32 v[72:73], v69 offset1:1
	s_add_i32 s9, s6, 0x600
	s_waitcnt lgkmcnt(1)
	v_pk_fma_f16 v31, v3, v70, 0
	s_nop 0
	v_pk_fma_f16 v31, v2, v71, v31
	s_waitcnt lgkmcnt(0)
	v_pk_fma_f16 v31, v0, v72, v31
	s_nop 0
	v_pk_fma_f16 v31, v1, v73, v31
	s_nop 0
	v_cvt_f32_f16_e32 v69, v31
	v_cvt_f32_f16_sdwa v31, v31 dst_sel:DWORD dst_unused:UNUSED_PAD src0_sel:WORD_1
	v_add_f32_e32 v31, v31, v69
	v_fmac_f32_e32 v38, v31, v10
	v_pk_fma_f16 v31, v18, v70, 0
	s_nop 0
	v_pk_fma_f16 v31, v19, v71, v31
	s_nop 0
	v_pk_fma_f16 v31, v20, v72, v31
	s_nop 0
	v_pk_fma_f16 v31, v21, v73, v31
	s_nop 0
	v_cvt_f32_f16_e32 v69, v31
	v_cvt_f32_f16_sdwa v31, v31 dst_sel:DWORD dst_unused:UNUSED_PAD src0_sel:WORD_1
	v_add_f32_e32 v31, v31, v69
	v_fmac_f32_e32 v39, v31, v5
	v_pk_fma_f16 v31, v22, v70, 0
	s_nop 0
	v_pk_fma_f16 v31, v23, v71, v31
	s_nop 0
	v_pk_fma_f16 v31, v24, v72, v31
	s_nop 0
	v_pk_fma_f16 v31, v25, v73, v31
	s_nop 0
	v_cvt_f32_f16_e32 v69, v31
	v_cvt_f32_f16_sdwa v31, v31 dst_sel:DWORD dst_unused:UNUSED_PAD src0_sel:WORD_1
	v_add_f32_e32 v31, v31, v69
	v_fmac_f32_e32 v35, v31, v12
	v_pk_fma_f16 v31, v26, v70, 0
	s_nop 0
	v_pk_fma_f16 v31, v27, v71, v31
	s_nop 0
	v_pk_fma_f16 v31, v29, v72, v31
	s_nop 0
	v_pk_fma_f16 v31, v30, v73, v31
	s_nop 0
	v_cvt_f32_f16_e32 v69, v31
	v_cvt_f32_f16_sdwa v31, v31 dst_sel:DWORD dst_unused:UNUSED_PAD src0_sel:WORD_1
	v_add_f32_e32 v31, v31, v69
	v_fmac_f32_e32 v40, v31, v13
	v_mov_b32_e32 v31, s9
	ds_read2_b32 v[70:71], v31 offset1:1
	s_add_i32 s9, s6, 0x608
	v_mov_b32_e32 v69, s9
	ds_read2_b32 v[72:73], v69 offset1:1
	s_add_i32 s9, s6, 0x700
	s_waitcnt lgkmcnt(1)
	v_pk_fma_f16 v31, v3, v70, 0
	s_nop 0
	v_pk_fma_f16 v31, v2, v71, v31
	s_waitcnt lgkmcnt(0)
	v_pk_fma_f16 v31, v0, v72, v31
	s_nop 0
	v_pk_fma_f16 v31, v1, v73, v31
	s_nop 0
	v_cvt_f32_f16_e32 v69, v31
	v_cvt_f32_f16_sdwa v31, v31 dst_sel:DWORD dst_unused:UNUSED_PAD src0_sel:WORD_1
	v_add_f32_e32 v31, v31, v69
	v_fmac_f32_e32 v36, v31, v10
	v_pk_fma_f16 v31, v18, v70, 0
	s_nop 0
	v_pk_fma_f16 v31, v19, v71, v31
	s_nop 0
	v_pk_fma_f16 v31, v20, v72, v31
	s_nop 0
	v_pk_fma_f16 v31, v21, v73, v31
	s_nop 0
	v_cvt_f32_f16_e32 v69, v31
	v_cvt_f32_f16_sdwa v31, v31 dst_sel:DWORD dst_unused:UNUSED_PAD src0_sel:WORD_1
	v_add_f32_e32 v31, v31, v69
	v_fmac_f32_e32 v37, v31, v5
	v_pk_fma_f16 v31, v22, v70, 0
	s_nop 0
	v_pk_fma_f16 v31, v23, v71, v31
	s_nop 0
	;; [unrolled: 2-line block ×4, first 2 shown]
	v_cvt_f32_f16_e32 v69, v31
	v_cvt_f32_f16_sdwa v31, v31 dst_sel:DWORD dst_unused:UNUSED_PAD src0_sel:WORD_1
	v_add_f32_e32 v31, v31, v69
	v_fmac_f32_e32 v34, v31, v12
	v_pk_fma_f16 v31, v26, v70, 0
	s_nop 0
	v_pk_fma_f16 v31, v27, v71, v31
	s_nop 0
	v_pk_fma_f16 v31, v29, v72, v31
	s_nop 0
	v_pk_fma_f16 v31, v30, v73, v31
	s_nop 0
	v_cvt_f32_f16_e32 v69, v31
	v_cvt_f32_f16_sdwa v31, v31 dst_sel:DWORD dst_unused:UNUSED_PAD src0_sel:WORD_1
	v_add_f32_e32 v31, v31, v69
	v_fmac_f32_e32 v33, v31, v13
	v_mov_b32_e32 v31, s9
	ds_read2_b32 v[70:71], v31 offset1:1
	s_add_i32 s9, s6, 0x708
	s_waitcnt lgkmcnt(0)
	v_pk_fma_f16 v3, v3, v70, 0
	s_nop 0
	v_pk_fma_f16 v31, v2, v71, v3
	v_mov_b32_e32 v2, s9
	ds_read2_b32 v[2:3], v2 offset1:1
	s_add_i32 s9, s6, 0x410
	s_waitcnt lgkmcnt(0)
	v_pk_fma_f16 v0, v0, v2, v31
	s_nop 0
	v_pk_fma_f16 v0, v1, v3, v0
	s_nop 0
	v_cvt_f32_f16_e32 v1, v0
	v_cvt_f32_f16_sdwa v0, v0 dst_sel:DWORD dst_unused:UNUSED_PAD src0_sel:WORD_1
	v_add_f32_e32 v0, v0, v1
	v_fmac_f32_e32 v17, v0, v10
	v_pk_fma_f16 v0, v18, v70, 0
	s_nop 0
	v_pk_fma_f16 v0, v19, v71, v0
	s_nop 0
	;; [unrolled: 2-line block ×4, first 2 shown]
	v_cvt_f32_f16_e32 v1, v0
	v_cvt_f32_f16_sdwa v0, v0 dst_sel:DWORD dst_unused:UNUSED_PAD src0_sel:WORD_1
	v_add_f32_e32 v0, v0, v1
	v_fmac_f32_e32 v32, v0, v5
	v_pk_fma_f16 v0, v22, v70, 0
	s_nop 0
	v_pk_fma_f16 v0, v23, v71, v0
	s_nop 0
	;; [unrolled: 2-line block ×4, first 2 shown]
	v_cvt_f32_f16_e32 v18, v0
	v_cvt_f32_f16_sdwa v20, v0 dst_sel:DWORD dst_unused:UNUSED_PAD src0_sel:WORD_1
	v_pk_fma_f16 v0, v26, v70, 0
	s_nop 0
	v_pk_fma_f16 v0, v27, v71, v0
	s_nop 0
	;; [unrolled: 2-line block ×4, first 2 shown]
	v_cvt_f32_f16_sdwa v21, v0 dst_sel:DWORD dst_unused:UNUSED_PAD src0_sel:WORD_1
	v_cvt_f32_f16_e32 v19, v0
	v_lshl_add_u64 v[0:1], v[8:9], 0, s[2:3]
	global_load_dwordx4 v[22:25], v[0:1], off
	v_lshl_add_u64 v[8:9], v[8:9], 0, s[0:1]
	v_pk_add_f32 v[18:19], v[18:19], v[20:21]
	s_waitcnt vmcnt(0)
	v_and_b32_e32 v2, 0xf000f, v22
	v_and_b32_e32 v3, 0xf000f0, v22
	v_lshrrev_b32_e32 v22, 8, v22
	v_or_b32_e32 v2, 0x64006400, v2
	v_or_b32_e32 v3, 0x64006400, v3
	v_and_b32_e32 v26, 0xf000f, v22
	v_and_b32_e32 v22, 0xf000f0, v22
	v_or_b32_e32 v22, 0x64006400, v22
	v_pk_add_f16 v77, v65, v2
	v_pk_fma_f16 v76, v3, s19, v14 op_sel_hi:[1,0,1]
	v_and_b32_e32 v2, 0xf000f, v23
	v_and_b32_e32 v3, 0xf000f0, v23
	v_pk_fma_f16 v75, v22, s19, v14 op_sel_hi:[1,0,1]
	v_or_b32_e32 v2, 0x64006400, v2
	v_or_b32_e32 v3, 0x64006400, v3
	v_lshrrev_b32_e32 v22, 8, v23
	v_and_b32_e32 v23, 0xf000f, v22
	v_and_b32_e32 v22, 0xf000f0, v22
	v_pk_add_f16 v70, v67, v2
	v_pk_fma_f16 v71, v3, s19, v11 op_sel_hi:[1,0,1]
	v_and_b32_e32 v2, 0xf000f, v24
	v_and_b32_e32 v3, 0xf000f0, v24
	v_or_b32_e32 v22, 0x64006400, v22
	v_or_b32_e32 v2, 0x64006400, v2
	;; [unrolled: 1-line block ×3, first 2 shown]
	v_pk_fma_f16 v73, v22, s19, v11 op_sel_hi:[1,0,1]
	v_lshrrev_b32_e32 v22, 8, v24
	v_pk_add_f16 v24, v66, v2
	v_pk_fma_f16 v30, v3, s19, v16 op_sel_hi:[1,0,1]
	v_and_b32_e32 v2, 0xf000f, v25
	v_and_b32_e32 v3, 0xf000f0, v25
	v_or_b32_e32 v23, 0x64006400, v23
	v_or_b32_e32 v2, 0x64006400, v2
	;; [unrolled: 1-line block ×3, first 2 shown]
	v_pk_add_f16 v72, v67, v23
	v_and_b32_e32 v23, 0xf000f, v22
	v_and_b32_e32 v22, 0xf000f0, v22
	v_pk_add_f16 v27, v68, v2
	v_pk_fma_f16 v29, v3, s19, v15 op_sel_hi:[1,0,1]
	ds_read2_b32 v[2:3], v28 offset0:4 offset1:5
	v_or_b32_e32 v22, 0x64006400, v22
	v_or_b32_e32 v23, 0x64006400, v23
	v_pk_fma_f16 v69, v22, s19, v16 op_sel_hi:[1,0,1]
	v_lshrrev_b32_e32 v22, 8, v25
	v_pk_add_f16 v31, v66, v23
	v_and_b32_e32 v23, 0xf000f, v22
	v_and_b32_e32 v22, 0xf000f0, v22
	v_or_b32_e32 v26, 0x64006400, v26
	v_or_b32_e32 v22, 0x64006400, v22
	v_pk_add_f16 v74, v65, v26
	v_or_b32_e32 v23, 0x64006400, v23
	v_pk_fma_f16 v26, v22, s19, v15 op_sel_hi:[1,0,1]
	s_waitcnt lgkmcnt(0)
	v_pk_fma_f16 v22, v77, v2, 0
	v_pk_add_f16 v25, v68, v23
	v_pk_fma_f16 v78, v76, v3, v22
	ds_read2_b32 v[22:23], v28 offset0:6 offset1:7
	v_pk_fma_f32 v[6:7], v[18:19], v[12:13], v[6:7]
	s_waitcnt lgkmcnt(0)
	v_pk_fma_f16 v78, v74, v22, v78
	s_nop 0
	v_pk_fma_f16 v78, v75, v23, v78
	s_nop 0
	v_cvt_f32_f16_e32 v79, v78
	v_cvt_f32_f16_sdwa v78, v78 dst_sel:DWORD dst_unused:UNUSED_PAD src0_sel:WORD_1
	v_add_f32_e32 v78, v78, v79
	v_fmac_f32_e32 v60, v78, v10
	v_pk_fma_f16 v78, v70, v2, 0
	s_nop 0
	v_pk_fma_f16 v78, v71, v3, v78
	s_nop 0
	v_pk_fma_f16 v78, v72, v22, v78
	s_nop 0
	v_pk_fma_f16 v78, v73, v23, v78
	s_nop 0
	v_cvt_f32_f16_e32 v79, v78
	v_cvt_f32_f16_sdwa v78, v78 dst_sel:DWORD dst_unused:UNUSED_PAD src0_sel:WORD_1
	v_add_f32_e32 v78, v78, v79
	v_fmac_f32_e32 v61, v78, v5
	v_pk_fma_f16 v78, v24, v2, 0
	v_pk_fma_f16 v2, v27, v2, 0
	v_pk_fma_f16 v78, v30, v3, v78
	v_pk_fma_f16 v2, v29, v3, v2
	v_pk_fma_f16 v78, v31, v22, v78
	v_pk_fma_f16 v2, v25, v22, v2
	v_pk_fma_f16 v78, v69, v23, v78
	v_pk_fma_f16 v2, v26, v23, v2
	v_cvt_f32_f16_e32 v79, v78
	v_cvt_f32_f16_e32 v3, v2
	v_cvt_f32_f16_sdwa v2, v2 dst_sel:DWORD dst_unused:UNUSED_PAD src0_sel:WORD_1
	v_cvt_f32_f16_sdwa v78, v78 dst_sel:DWORD dst_unused:UNUSED_PAD src0_sel:WORD_1
	v_add_f32_e32 v2, v2, v3
	v_fmac_f32_e32 v59, v2, v13
	ds_read2_b32 v[2:3], v28 offset0:68 offset1:69
	v_add_f32_e32 v78, v78, v79
	v_fmac_f32_e32 v58, v78, v12
	s_waitcnt lgkmcnt(0)
	v_pk_fma_f16 v22, v77, v2, 0
	s_nop 0
	v_pk_fma_f16 v78, v76, v3, v22
	ds_read2_b32 v[22:23], v28 offset0:70 offset1:71
	s_waitcnt lgkmcnt(0)
	v_pk_fma_f16 v78, v74, v22, v78
	s_nop 0
	v_pk_fma_f16 v78, v75, v23, v78
	s_nop 0
	v_cvt_f32_f16_e32 v79, v78
	v_cvt_f32_f16_sdwa v78, v78 dst_sel:DWORD dst_unused:UNUSED_PAD src0_sel:WORD_1
	v_add_f32_e32 v78, v78, v79
	v_fmac_f32_e32 v56, v78, v10
	v_pk_fma_f16 v78, v70, v2, 0
	s_nop 0
	v_pk_fma_f16 v78, v71, v3, v78
	s_nop 0
	v_pk_fma_f16 v78, v72, v22, v78
	s_nop 0
	v_pk_fma_f16 v78, v73, v23, v78
	s_nop 0
	v_cvt_f32_f16_e32 v79, v78
	v_cvt_f32_f16_sdwa v78, v78 dst_sel:DWORD dst_unused:UNUSED_PAD src0_sel:WORD_1
	v_add_f32_e32 v78, v78, v79
	v_fmac_f32_e32 v57, v78, v5
	v_pk_fma_f16 v78, v24, v2, 0
	v_pk_fma_f16 v2, v27, v2, 0
	v_pk_fma_f16 v78, v30, v3, v78
	v_pk_fma_f16 v2, v29, v3, v2
	v_pk_fma_f16 v78, v31, v22, v78
	v_pk_fma_f16 v2, v25, v22, v2
	v_pk_fma_f16 v78, v69, v23, v78
	v_pk_fma_f16 v2, v26, v23, v2
	v_cvt_f32_f16_e32 v79, v78
	v_cvt_f32_f16_e32 v3, v2
	v_cvt_f32_f16_sdwa v2, v2 dst_sel:DWORD dst_unused:UNUSED_PAD src0_sel:WORD_1
	v_cvt_f32_f16_sdwa v78, v78 dst_sel:DWORD dst_unused:UNUSED_PAD src0_sel:WORD_1
	v_add_f32_e32 v2, v2, v3
	v_fmac_f32_e32 v54, v2, v13
	ds_read2_b32 v[2:3], v28 offset0:132 offset1:133
	v_add_f32_e32 v78, v78, v79
	v_fmac_f32_e32 v53, v78, v12
	s_waitcnt lgkmcnt(0)
	v_pk_fma_f16 v22, v77, v2, 0
	s_nop 0
	v_pk_fma_f16 v78, v76, v3, v22
	ds_read2_b32 v[22:23], v28 offset0:134 offset1:135
	s_waitcnt lgkmcnt(0)
	v_pk_fma_f16 v78, v74, v22, v78
	s_nop 0
	v_pk_fma_f16 v78, v75, v23, v78
	s_nop 0
	v_cvt_f32_f16_e32 v79, v78
	v_cvt_f32_f16_sdwa v78, v78 dst_sel:DWORD dst_unused:UNUSED_PAD src0_sel:WORD_1
	v_add_f32_e32 v78, v78, v79
	v_fmac_f32_e32 v51, v78, v10
	v_pk_fma_f16 v78, v70, v2, 0
	s_nop 0
	v_pk_fma_f16 v78, v71, v3, v78
	s_nop 0
	v_pk_fma_f16 v78, v72, v22, v78
	s_nop 0
	v_pk_fma_f16 v78, v73, v23, v78
	s_nop 0
	v_cvt_f32_f16_e32 v79, v78
	v_cvt_f32_f16_sdwa v78, v78 dst_sel:DWORD dst_unused:UNUSED_PAD src0_sel:WORD_1
	v_add_f32_e32 v78, v78, v79
	v_fmac_f32_e32 v52, v78, v5
	v_pk_fma_f16 v78, v24, v2, 0
	v_pk_fma_f16 v2, v27, v2, 0
	v_pk_fma_f16 v78, v30, v3, v78
	v_pk_fma_f16 v2, v29, v3, v2
	v_pk_fma_f16 v78, v31, v22, v78
	v_pk_fma_f16 v2, v25, v22, v2
	v_pk_fma_f16 v78, v69, v23, v78
	v_pk_fma_f16 v2, v26, v23, v2
	v_cvt_f32_f16_e32 v79, v78
	v_cvt_f32_f16_e32 v3, v2
	v_cvt_f32_f16_sdwa v2, v2 dst_sel:DWORD dst_unused:UNUSED_PAD src0_sel:WORD_1
	v_cvt_f32_f16_sdwa v78, v78 dst_sel:DWORD dst_unused:UNUSED_PAD src0_sel:WORD_1
	v_add_f32_e32 v2, v2, v3
	v_fmac_f32_e32 v50, v2, v13
	ds_read2_b32 v[2:3], v28 offset0:196 offset1:197
	v_add_f32_e32 v78, v78, v79
	v_fmac_f32_e32 v49, v78, v12
	s_waitcnt lgkmcnt(0)
	v_pk_fma_f16 v22, v77, v2, 0
	s_nop 0
	v_pk_fma_f16 v78, v76, v3, v22
	ds_read2_b32 v[22:23], v28 offset0:198 offset1:199
	s_waitcnt lgkmcnt(0)
	v_pk_fma_f16 v78, v74, v22, v78
	s_nop 0
	v_pk_fma_f16 v78, v75, v23, v78
	s_nop 0
	v_cvt_f32_f16_e32 v79, v78
	v_cvt_f32_f16_sdwa v78, v78 dst_sel:DWORD dst_unused:UNUSED_PAD src0_sel:WORD_1
	v_add_f32_e32 v78, v78, v79
	v_fmac_f32_e32 v47, v78, v10
	v_pk_fma_f16 v78, v70, v2, 0
	s_nop 0
	v_pk_fma_f16 v78, v71, v3, v78
	s_nop 0
	v_pk_fma_f16 v78, v72, v22, v78
	s_nop 0
	v_pk_fma_f16 v78, v73, v23, v78
	s_nop 0
	v_cvt_f32_f16_e32 v79, v78
	v_cvt_f32_f16_sdwa v78, v78 dst_sel:DWORD dst_unused:UNUSED_PAD src0_sel:WORD_1
	v_add_f32_e32 v78, v78, v79
	v_fmac_f32_e32 v48, v78, v5
	v_pk_fma_f16 v78, v24, v2, 0
	v_pk_fma_f16 v2, v27, v2, 0
	v_pk_fma_f16 v78, v30, v3, v78
	v_pk_fma_f16 v2, v29, v3, v2
	v_pk_fma_f16 v78, v31, v22, v78
	v_pk_fma_f16 v2, v25, v22, v2
	v_pk_fma_f16 v78, v69, v23, v78
	v_pk_fma_f16 v2, v26, v23, v2
	v_cvt_f32_f16_e32 v79, v78
	v_cvt_f32_f16_e32 v3, v2
	v_cvt_f32_f16_sdwa v2, v2 dst_sel:DWORD dst_unused:UNUSED_PAD src0_sel:WORD_1
	v_cvt_f32_f16_sdwa v78, v78 dst_sel:DWORD dst_unused:UNUSED_PAD src0_sel:WORD_1
	v_add_f32_e32 v2, v2, v3
	v_fmac_f32_e32 v46, v2, v13
	v_mov_b32_e32 v2, s9
	ds_read2_b32 v[2:3], v2 offset1:1
	v_add_f32_e32 v78, v78, v79
	s_add_i32 s9, s6, 0x418
	v_fmac_f32_e32 v45, v78, v12
	s_waitcnt lgkmcnt(0)
	v_pk_fma_f16 v22, v77, v2, 0
	s_nop 0
	v_pk_fma_f16 v78, v76, v3, v22
	v_mov_b32_e32 v22, s9
	ds_read2_b32 v[22:23], v22 offset1:1
	s_add_i32 s9, s6, 0x510
	s_waitcnt lgkmcnt(0)
	v_pk_fma_f16 v78, v74, v22, v78
	s_nop 0
	v_pk_fma_f16 v78, v75, v23, v78
	s_nop 0
	v_cvt_f32_f16_e32 v79, v78
	v_cvt_f32_f16_sdwa v78, v78 dst_sel:DWORD dst_unused:UNUSED_PAD src0_sel:WORD_1
	v_add_f32_e32 v78, v78, v79
	v_fmac_f32_e32 v43, v78, v10
	v_pk_fma_f16 v78, v70, v2, 0
	s_nop 0
	v_pk_fma_f16 v78, v71, v3, v78
	s_nop 0
	v_pk_fma_f16 v78, v72, v22, v78
	s_nop 0
	v_pk_fma_f16 v78, v73, v23, v78
	s_nop 0
	v_cvt_f32_f16_e32 v79, v78
	v_cvt_f32_f16_sdwa v78, v78 dst_sel:DWORD dst_unused:UNUSED_PAD src0_sel:WORD_1
	v_add_f32_e32 v78, v78, v79
	v_fmac_f32_e32 v44, v78, v5
	v_pk_fma_f16 v78, v24, v2, 0
	v_pk_fma_f16 v2, v27, v2, 0
	v_pk_fma_f16 v78, v30, v3, v78
	v_pk_fma_f16 v2, v29, v3, v2
	v_pk_fma_f16 v78, v31, v22, v78
	v_pk_fma_f16 v2, v25, v22, v2
	v_pk_fma_f16 v78, v69, v23, v78
	v_pk_fma_f16 v2, v26, v23, v2
	v_cvt_f32_f16_e32 v79, v78
	v_cvt_f32_f16_e32 v3, v2
	v_cvt_f32_f16_sdwa v2, v2 dst_sel:DWORD dst_unused:UNUSED_PAD src0_sel:WORD_1
	v_cvt_f32_f16_sdwa v78, v78 dst_sel:DWORD dst_unused:UNUSED_PAD src0_sel:WORD_1
	v_add_f32_e32 v2, v2, v3
	v_fmac_f32_e32 v42, v2, v13
	v_mov_b32_e32 v2, s9
	ds_read2_b32 v[2:3], v2 offset1:1
	v_add_f32_e32 v78, v78, v79
	s_add_i32 s9, s6, 0x518
	v_fmac_f32_e32 v41, v78, v12
	s_waitcnt lgkmcnt(0)
	v_pk_fma_f16 v22, v77, v2, 0
	s_nop 0
	v_pk_fma_f16 v78, v76, v3, v22
	v_mov_b32_e32 v22, s9
	ds_read2_b32 v[22:23], v22 offset1:1
	s_add_i32 s9, s6, 0x610
	;; [unrolled: 47-line block ×3, first 2 shown]
	s_waitcnt lgkmcnt(0)
	v_pk_fma_f16 v78, v74, v22, v78
	s_nop 0
	v_pk_fma_f16 v78, v75, v23, v78
	s_nop 0
	v_cvt_f32_f16_e32 v79, v78
	v_cvt_f32_f16_sdwa v78, v78 dst_sel:DWORD dst_unused:UNUSED_PAD src0_sel:WORD_1
	v_add_f32_e32 v78, v78, v79
	v_fmac_f32_e32 v36, v78, v10
	v_pk_fma_f16 v78, v70, v2, 0
	s_nop 0
	v_pk_fma_f16 v78, v71, v3, v78
	s_nop 0
	v_pk_fma_f16 v78, v72, v22, v78
	s_nop 0
	v_pk_fma_f16 v78, v73, v23, v78
	s_nop 0
	v_cvt_f32_f16_e32 v79, v78
	v_cvt_f32_f16_sdwa v78, v78 dst_sel:DWORD dst_unused:UNUSED_PAD src0_sel:WORD_1
	v_add_f32_e32 v78, v78, v79
	v_fmac_f32_e32 v37, v78, v5
	v_pk_fma_f16 v78, v24, v2, 0
	v_pk_fma_f16 v2, v27, v2, 0
	;; [unrolled: 1-line block ×8, first 2 shown]
	v_cvt_f32_f16_e32 v79, v78
	v_cvt_f32_f16_e32 v3, v2
	v_cvt_f32_f16_sdwa v2, v2 dst_sel:DWORD dst_unused:UNUSED_PAD src0_sel:WORD_1
	v_cvt_f32_f16_sdwa v78, v78 dst_sel:DWORD dst_unused:UNUSED_PAD src0_sel:WORD_1
	v_add_f32_e32 v2, v2, v3
	v_add_f32_e32 v78, v78, v79
	v_fmac_f32_e32 v33, v2, v13
	v_mov_b32_e32 v2, s9
	v_fmac_f32_e32 v34, v78, v12
	ds_read2_b32 v[78:79], v2 offset1:1
	s_add_i32 s9, s6, 0x718
	s_waitcnt lgkmcnt(0)
	v_pk_fma_f16 v2, v77, v78, 0
	s_nop 0
	v_pk_fma_f16 v22, v76, v79, v2
	v_mov_b32_e32 v2, s9
	ds_read2_b32 v[2:3], v2 offset1:1
	s_add_i32 s9, s6, 0x420
	s_waitcnt lgkmcnt(0)
	v_pk_fma_f16 v22, v74, v2, v22
	s_nop 0
	v_pk_fma_f16 v22, v75, v3, v22
	s_nop 0
	v_cvt_f32_f16_e32 v23, v22
	v_cvt_f32_f16_sdwa v22, v22 dst_sel:DWORD dst_unused:UNUSED_PAD src0_sel:WORD_1
	v_add_f32_e32 v22, v22, v23
	v_fmac_f32_e32 v17, v22, v10
	v_pk_fma_f16 v22, v70, v78, 0
	s_nop 0
	v_pk_fma_f16 v22, v71, v79, v22
	s_nop 0
	;; [unrolled: 2-line block ×4, first 2 shown]
	v_cvt_f32_f16_e32 v23, v22
	v_cvt_f32_f16_sdwa v22, v22 dst_sel:DWORD dst_unused:UNUSED_PAD src0_sel:WORD_1
	v_add_f32_e32 v22, v22, v23
	v_fmac_f32_e32 v32, v22, v5
	v_pk_fma_f16 v22, v24, v78, 0
	s_nop 0
	v_pk_fma_f16 v22, v30, v79, v22
	s_nop 0
	;; [unrolled: 2-line block ×4, first 2 shown]
	v_cvt_f32_f16_e32 v22, v23
	v_cvt_f32_f16_sdwa v24, v23 dst_sel:DWORD dst_unused:UNUSED_PAD src0_sel:WORD_1
	v_pk_fma_f16 v23, v27, v78, 0
	s_nop 0
	v_pk_fma_f16 v23, v29, v79, v23
	s_nop 0
	;; [unrolled: 2-line block ×3, first 2 shown]
	v_pk_fma_f16 v2, v26, v3, v2
	v_lshl_add_u64 v[26:27], v[0:1], 0, s[2:3]
	v_cvt_f32_f16_sdwa v25, v2 dst_sel:DWORD dst_unused:UNUSED_PAD src0_sel:WORD_1
	v_cvt_f32_f16_e32 v23, v2
	global_load_dwordx4 v[0:3], v[26:27], off
	v_lshl_add_u64 v[26:27], v[26:27], 0, s[2:3]
	v_pk_add_f32 v[18:19], v[22:23], v[24:25]
	s_nop 0
	v_pk_fma_f32 v[6:7], v[18:19], v[12:13], v[6:7]
	s_waitcnt vmcnt(0)
	v_and_b32_e32 v29, 0xf000f, v0
	v_and_b32_e32 v30, 0xf000f0, v0
	v_lshrrev_b32_e32 v0, 8, v0
	v_and_b32_e32 v31, 0xf000f, v0
	v_and_b32_e32 v0, 0xf000f0, v0
	v_or_b32_e32 v29, 0x64006400, v29
	v_or_b32_e32 v69, 0x64006400, v31
	;; [unrolled: 1-line block ×3, first 2 shown]
	v_pk_add_f16 v31, v65, v29
	v_pk_add_f16 v0, v65, v69
	v_pk_fma_f16 v29, v70, s19, v14 op_sel_hi:[1,0,1]
	v_and_b32_e32 v69, 0xf000f, v1
	v_and_b32_e32 v70, 0xf000f0, v1
	v_lshrrev_b32_e32 v1, 8, v1
	v_and_b32_e32 v71, 0xf000f, v1
	v_and_b32_e32 v1, 0xf000f0, v1
	v_or_b32_e32 v69, 0x64006400, v69
	v_or_b32_e32 v70, 0x64006400, v70
	v_or_b32_e32 v71, 0x64006400, v71
	v_or_b32_e32 v72, 0x64006400, v1
	v_pk_add_f16 v1, v67, v69
	v_pk_fma_f16 v69, v70, s19, v11 op_sel_hi:[1,0,1]
	v_pk_add_f16 v70, v67, v71
	v_pk_fma_f16 v71, v72, s19, v11 op_sel_hi:[1,0,1]
	v_and_b32_e32 v72, 0xf000f, v2
	v_and_b32_e32 v73, 0xf000f0, v2
	v_lshrrev_b32_e32 v2, 8, v2
	v_and_b32_e32 v74, 0xf000f, v2
	v_and_b32_e32 v2, 0xf000f0, v2
	v_or_b32_e32 v72, 0x64006400, v72
	v_or_b32_e32 v73, 0x64006400, v73
	v_or_b32_e32 v74, 0x64006400, v74
	v_or_b32_e32 v75, 0x64006400, v2
	v_pk_add_f16 v2, v66, v72
	v_pk_fma_f16 v72, v73, s19, v16 op_sel_hi:[1,0,1]
	v_pk_add_f16 v73, v66, v74
	v_pk_fma_f16 v74, v75, s19, v16 op_sel_hi:[1,0,1]
	v_and_b32_e32 v75, 0xf000f, v3
	v_and_b32_e32 v76, 0xf000f0, v3
	v_lshrrev_b32_e32 v3, 8, v3
	v_and_b32_e32 v77, 0xf000f, v3
	v_and_b32_e32 v3, 0xf000f0, v3
	v_or_b32_e32 v75, 0x64006400, v75
	v_or_b32_e32 v76, 0x64006400, v76
	v_or_b32_e32 v77, 0x64006400, v77
	v_or_b32_e32 v78, 0x64006400, v3
	v_pk_add_f16 v3, v68, v75
	v_pk_fma_f16 v75, v76, s19, v15 op_sel_hi:[1,0,1]
	v_pk_add_f16 v76, v68, v77
	v_pk_fma_f16 v77, v78, s19, v15 op_sel_hi:[1,0,1]
	ds_read2_b32 v[78:79], v28 offset0:8 offset1:9
	v_or_b32_e32 v30, 0x64006400, v30
	v_pk_fma_f16 v30, v30, s19, v14 op_sel_hi:[1,0,1]
	s_waitcnt lgkmcnt(0)
	v_pk_fma_f16 v80, v31, v78, 0
	s_nop 0
	v_pk_fma_f16 v82, v30, v79, v80
	ds_read2_b32 v[80:81], v28 offset0:10 offset1:11
	s_waitcnt lgkmcnt(0)
	v_pk_fma_f16 v82, v0, v80, v82
	s_nop 0
	v_pk_fma_f16 v82, v29, v81, v82
	s_nop 0
	v_cvt_f32_f16_e32 v83, v82
	v_cvt_f32_f16_sdwa v82, v82 dst_sel:DWORD dst_unused:UNUSED_PAD src0_sel:WORD_1
	v_add_f32_e32 v82, v82, v83
	v_fmac_f32_e32 v60, v82, v10
	v_pk_fma_f16 v82, v1, v78, 0
	s_nop 0
	v_pk_fma_f16 v82, v69, v79, v82
	s_nop 0
	v_pk_fma_f16 v82, v70, v80, v82
	s_nop 0
	v_pk_fma_f16 v82, v71, v81, v82
	s_nop 0
	v_cvt_f32_f16_e32 v83, v82
	v_cvt_f32_f16_sdwa v82, v82 dst_sel:DWORD dst_unused:UNUSED_PAD src0_sel:WORD_1
	v_add_f32_e32 v82, v82, v83
	v_fmac_f32_e32 v61, v82, v5
	v_pk_fma_f16 v82, v2, v78, 0
	v_pk_fma_f16 v78, v3, v78, 0
	v_pk_fma_f16 v82, v72, v79, v82
	v_pk_fma_f16 v78, v75, v79, v78
	v_pk_fma_f16 v82, v73, v80, v82
	v_pk_fma_f16 v78, v76, v80, v78
	v_pk_fma_f16 v82, v74, v81, v82
	v_pk_fma_f16 v78, v77, v81, v78
	v_cvt_f32_f16_e32 v83, v82
	v_cvt_f32_f16_e32 v79, v78
	v_cvt_f32_f16_sdwa v78, v78 dst_sel:DWORD dst_unused:UNUSED_PAD src0_sel:WORD_1
	v_cvt_f32_f16_sdwa v82, v82 dst_sel:DWORD dst_unused:UNUSED_PAD src0_sel:WORD_1
	v_add_f32_e32 v78, v78, v79
	v_fmac_f32_e32 v59, v78, v13
	ds_read2_b32 v[78:79], v28 offset0:72 offset1:73
	v_add_f32_e32 v82, v82, v83
	v_fmac_f32_e32 v58, v82, v12
	s_waitcnt lgkmcnt(0)
	v_pk_fma_f16 v80, v31, v78, 0
	s_nop 0
	v_pk_fma_f16 v82, v30, v79, v80
	ds_read2_b32 v[80:81], v28 offset0:74 offset1:75
	s_waitcnt lgkmcnt(0)
	v_pk_fma_f16 v82, v0, v80, v82
	s_nop 0
	v_pk_fma_f16 v82, v29, v81, v82
	s_nop 0
	v_cvt_f32_f16_e32 v83, v82
	v_cvt_f32_f16_sdwa v82, v82 dst_sel:DWORD dst_unused:UNUSED_PAD src0_sel:WORD_1
	v_add_f32_e32 v82, v82, v83
	v_fmac_f32_e32 v56, v82, v10
	v_pk_fma_f16 v82, v1, v78, 0
	s_nop 0
	v_pk_fma_f16 v82, v69, v79, v82
	s_nop 0
	v_pk_fma_f16 v82, v70, v80, v82
	s_nop 0
	v_pk_fma_f16 v82, v71, v81, v82
	s_nop 0
	v_cvt_f32_f16_e32 v83, v82
	v_cvt_f32_f16_sdwa v82, v82 dst_sel:DWORD dst_unused:UNUSED_PAD src0_sel:WORD_1
	v_add_f32_e32 v82, v82, v83
	v_fmac_f32_e32 v57, v82, v5
	v_pk_fma_f16 v82, v2, v78, 0
	v_pk_fma_f16 v78, v3, v78, 0
	v_pk_fma_f16 v82, v72, v79, v82
	v_pk_fma_f16 v78, v75, v79, v78
	v_pk_fma_f16 v82, v73, v80, v82
	v_pk_fma_f16 v78, v76, v80, v78
	v_pk_fma_f16 v82, v74, v81, v82
	v_pk_fma_f16 v78, v77, v81, v78
	v_cvt_f32_f16_e32 v83, v82
	v_cvt_f32_f16_e32 v79, v78
	v_cvt_f32_f16_sdwa v78, v78 dst_sel:DWORD dst_unused:UNUSED_PAD src0_sel:WORD_1
	v_cvt_f32_f16_sdwa v82, v82 dst_sel:DWORD dst_unused:UNUSED_PAD src0_sel:WORD_1
	v_add_f32_e32 v78, v78, v79
	v_fmac_f32_e32 v54, v78, v13
	ds_read2_b32 v[78:79], v28 offset0:136 offset1:137
	v_add_f32_e32 v82, v82, v83
	v_fmac_f32_e32 v53, v82, v12
	;; [unrolled: 43-line block ×3, first 2 shown]
	s_waitcnt lgkmcnt(0)
	v_pk_fma_f16 v80, v31, v78, 0
	s_nop 0
	v_pk_fma_f16 v82, v30, v79, v80
	ds_read2_b32 v[80:81], v28 offset0:202 offset1:203
	s_waitcnt lgkmcnt(0)
	v_pk_fma_f16 v82, v0, v80, v82
	s_nop 0
	v_pk_fma_f16 v82, v29, v81, v82
	s_nop 0
	v_cvt_f32_f16_e32 v83, v82
	v_cvt_f32_f16_sdwa v82, v82 dst_sel:DWORD dst_unused:UNUSED_PAD src0_sel:WORD_1
	v_add_f32_e32 v82, v82, v83
	v_fmac_f32_e32 v47, v82, v10
	v_pk_fma_f16 v82, v1, v78, 0
	s_nop 0
	v_pk_fma_f16 v82, v69, v79, v82
	s_nop 0
	v_pk_fma_f16 v82, v70, v80, v82
	s_nop 0
	v_pk_fma_f16 v82, v71, v81, v82
	s_nop 0
	v_cvt_f32_f16_e32 v83, v82
	v_cvt_f32_f16_sdwa v82, v82 dst_sel:DWORD dst_unused:UNUSED_PAD src0_sel:WORD_1
	v_add_f32_e32 v82, v82, v83
	v_fmac_f32_e32 v48, v82, v5
	v_pk_fma_f16 v82, v2, v78, 0
	v_pk_fma_f16 v78, v3, v78, 0
	v_pk_fma_f16 v82, v72, v79, v82
	v_pk_fma_f16 v78, v75, v79, v78
	v_pk_fma_f16 v82, v73, v80, v82
	v_pk_fma_f16 v78, v76, v80, v78
	v_pk_fma_f16 v82, v74, v81, v82
	v_pk_fma_f16 v78, v77, v81, v78
	v_cvt_f32_f16_e32 v83, v82
	v_cvt_f32_f16_e32 v79, v78
	v_cvt_f32_f16_sdwa v78, v78 dst_sel:DWORD dst_unused:UNUSED_PAD src0_sel:WORD_1
	v_cvt_f32_f16_sdwa v82, v82 dst_sel:DWORD dst_unused:UNUSED_PAD src0_sel:WORD_1
	v_add_f32_e32 v78, v78, v79
	v_fmac_f32_e32 v46, v78, v13
	v_mov_b32_e32 v78, s9
	ds_read2_b32 v[78:79], v78 offset1:1
	v_add_f32_e32 v82, v82, v83
	s_add_i32 s9, s6, 0x428
	v_fmac_f32_e32 v45, v82, v12
	s_waitcnt lgkmcnt(0)
	v_pk_fma_f16 v80, v31, v78, 0
	s_nop 0
	v_pk_fma_f16 v82, v30, v79, v80
	v_mov_b32_e32 v80, s9
	ds_read2_b32 v[80:81], v80 offset1:1
	s_add_i32 s9, s6, 0x520
	s_waitcnt lgkmcnt(0)
	v_pk_fma_f16 v82, v0, v80, v82
	s_nop 0
	v_pk_fma_f16 v82, v29, v81, v82
	s_nop 0
	v_cvt_f32_f16_e32 v83, v82
	v_cvt_f32_f16_sdwa v82, v82 dst_sel:DWORD dst_unused:UNUSED_PAD src0_sel:WORD_1
	v_add_f32_e32 v82, v82, v83
	v_fmac_f32_e32 v43, v82, v10
	v_pk_fma_f16 v82, v1, v78, 0
	s_nop 0
	v_pk_fma_f16 v82, v69, v79, v82
	s_nop 0
	v_pk_fma_f16 v82, v70, v80, v82
	s_nop 0
	v_pk_fma_f16 v82, v71, v81, v82
	s_nop 0
	v_cvt_f32_f16_e32 v83, v82
	v_cvt_f32_f16_sdwa v82, v82 dst_sel:DWORD dst_unused:UNUSED_PAD src0_sel:WORD_1
	v_add_f32_e32 v82, v82, v83
	v_fmac_f32_e32 v44, v82, v5
	v_pk_fma_f16 v82, v2, v78, 0
	v_pk_fma_f16 v78, v3, v78, 0
	v_pk_fma_f16 v82, v72, v79, v82
	v_pk_fma_f16 v78, v75, v79, v78
	v_pk_fma_f16 v82, v73, v80, v82
	v_pk_fma_f16 v78, v76, v80, v78
	v_pk_fma_f16 v82, v74, v81, v82
	v_pk_fma_f16 v78, v77, v81, v78
	v_cvt_f32_f16_e32 v83, v82
	v_cvt_f32_f16_e32 v79, v78
	v_cvt_f32_f16_sdwa v78, v78 dst_sel:DWORD dst_unused:UNUSED_PAD src0_sel:WORD_1
	v_cvt_f32_f16_sdwa v82, v82 dst_sel:DWORD dst_unused:UNUSED_PAD src0_sel:WORD_1
	v_add_f32_e32 v78, v78, v79
	v_fmac_f32_e32 v42, v78, v13
	v_mov_b32_e32 v78, s9
	ds_read2_b32 v[78:79], v78 offset1:1
	v_add_f32_e32 v82, v82, v83
	s_add_i32 s9, s6, 0x528
	v_fmac_f32_e32 v41, v82, v12
	s_waitcnt lgkmcnt(0)
	v_pk_fma_f16 v80, v31, v78, 0
	s_nop 0
	v_pk_fma_f16 v82, v30, v79, v80
	v_mov_b32_e32 v80, s9
	ds_read2_b32 v[80:81], v80 offset1:1
	s_add_i32 s9, s6, 0x620
	;; [unrolled: 47-line block ×3, first 2 shown]
	s_waitcnt lgkmcnt(0)
	v_pk_fma_f16 v82, v0, v80, v82
	s_nop 0
	v_pk_fma_f16 v82, v29, v81, v82
	s_nop 0
	v_cvt_f32_f16_e32 v83, v82
	v_cvt_f32_f16_sdwa v82, v82 dst_sel:DWORD dst_unused:UNUSED_PAD src0_sel:WORD_1
	v_add_f32_e32 v82, v82, v83
	v_fmac_f32_e32 v36, v82, v10
	v_pk_fma_f16 v82, v1, v78, 0
	s_nop 0
	v_pk_fma_f16 v82, v69, v79, v82
	s_nop 0
	v_pk_fma_f16 v82, v70, v80, v82
	s_nop 0
	v_pk_fma_f16 v82, v71, v81, v82
	s_nop 0
	v_cvt_f32_f16_e32 v83, v82
	v_cvt_f32_f16_sdwa v82, v82 dst_sel:DWORD dst_unused:UNUSED_PAD src0_sel:WORD_1
	v_add_f32_e32 v82, v82, v83
	v_fmac_f32_e32 v37, v82, v5
	v_pk_fma_f16 v82, v2, v78, 0
	v_pk_fma_f16 v78, v3, v78, 0
	;; [unrolled: 1-line block ×8, first 2 shown]
	v_cvt_f32_f16_e32 v83, v82
	v_cvt_f32_f16_sdwa v82, v82 dst_sel:DWORD dst_unused:UNUSED_PAD src0_sel:WORD_1
	v_cvt_f32_f16_e32 v79, v78
	v_cvt_f32_f16_sdwa v78, v78 dst_sel:DWORD dst_unused:UNUSED_PAD src0_sel:WORD_1
	v_add_f32_e32 v82, v82, v83
	v_fmac_f32_e32 v34, v82, v12
	global_load_dwordx4 v[82:85], v[26:27], off
	v_add_f32_e32 v78, v78, v79
	v_fmac_f32_e32 v33, v78, v13
	v_mov_b32_e32 v78, s9
	ds_read2_b32 v[78:79], v78 offset1:1
	s_add_i32 s9, s6, 0x728
	s_waitcnt lgkmcnt(0)
	v_pk_fma_f16 v31, v31, v78, 0
	s_nop 0
	v_pk_fma_f16 v80, v30, v79, v31
	v_mov_b32_e32 v30, s9
	ds_read2_b32 v[30:31], v30 offset1:1
	s_add_i32 s9, s6, 0x430
	s_waitcnt lgkmcnt(0)
	v_pk_fma_f16 v0, v0, v30, v80
	s_nop 0
	v_pk_fma_f16 v0, v29, v31, v0
	s_waitcnt vmcnt(0)
	v_and_b32_e32 v26, 0xf000f, v82
	v_cvt_f32_f16_e32 v29, v0
	v_cvt_f32_f16_sdwa v0, v0 dst_sel:DWORD dst_unused:UNUSED_PAD src0_sel:WORD_1
	v_and_b32_e32 v27, 0xf000f0, v82
	v_or_b32_e32 v26, 0x64006400, v26
	v_or_b32_e32 v27, 0x64006400, v27
	v_add_f32_e32 v0, v0, v29
	v_fmac_f32_e32 v17, v0, v10
	v_pk_fma_f16 v0, v1, v78, 0
	v_lshrrev_b32_e32 v29, 8, v82
	v_pk_fma_f16 v0, v69, v79, v0
	s_nop 0
	v_pk_fma_f16 v0, v70, v30, v0
	s_nop 0
	;; [unrolled: 2-line block ×3, first 2 shown]
	v_cvt_f32_f16_e32 v1, v0
	v_cvt_f32_f16_sdwa v0, v0 dst_sel:DWORD dst_unused:UNUSED_PAD src0_sel:WORD_1
	v_add_f32_e32 v0, v0, v1
	v_fmac_f32_e32 v32, v0, v5
	v_pk_fma_f16 v0, v2, v78, 0
	s_nop 0
	v_pk_fma_f16 v0, v72, v79, v0
	s_nop 0
	;; [unrolled: 2-line block ×4, first 2 shown]
	v_cvt_f32_f16_e32 v0, v1
	v_cvt_f32_f16_sdwa v2, v1 dst_sel:DWORD dst_unused:UNUSED_PAD src0_sel:WORD_1
	v_pk_fma_f16 v1, v3, v78, 0
	s_nop 0
	v_pk_fma_f16 v1, v75, v79, v1
	s_nop 0
	v_pk_fma_f16 v1, v76, v30, v1
	v_and_b32_e32 v30, 0xf000f, v29
	v_pk_fma_f16 v1, v77, v31, v1
	v_or_b32_e32 v69, 0x64006400, v30
	v_and_b32_e32 v29, 0xf000f0, v29
	v_pk_add_f16 v31, v65, v26
	v_pk_fma_f16 v30, v27, s19, v14 op_sel_hi:[1,0,1]
	v_and_b32_e32 v26, 0xf000f, v83
	v_and_b32_e32 v27, 0xf000f0, v83
	v_or_b32_e32 v29, 0x64006400, v29
	v_or_b32_e32 v26, 0x64006400, v26
	;; [unrolled: 1-line block ×3, first 2 shown]
	v_pk_fma_f16 v82, v29, s19, v14 op_sel_hi:[1,0,1]
	v_lshrrev_b32_e32 v29, 8, v83
	v_pk_add_f16 v77, v67, v26
	v_pk_fma_f16 v78, v27, s19, v11 op_sel_hi:[1,0,1]
	v_and_b32_e32 v26, 0xf000f, v84
	v_and_b32_e32 v27, 0xf000f0, v84
	v_pk_add_f16 v81, v65, v69
	v_and_b32_e32 v69, 0xf000f, v29
	v_and_b32_e32 v29, 0xf000f0, v29
	v_or_b32_e32 v26, 0x64006400, v26
	v_or_b32_e32 v27, 0x64006400, v27
	;; [unrolled: 1-line block ×3, first 2 shown]
	v_pk_add_f16 v73, v66, v26
	v_pk_fma_f16 v74, v27, s19, v16 op_sel_hi:[1,0,1]
	v_and_b32_e32 v26, 0xf000f, v85
	v_and_b32_e32 v27, 0xf000f0, v85
	v_or_b32_e32 v69, 0x64006400, v69
	v_pk_fma_f16 v80, v29, s19, v11 op_sel_hi:[1,0,1]
	v_lshrrev_b32_e32 v29, 8, v84
	v_or_b32_e32 v26, 0x64006400, v26
	v_or_b32_e32 v27, 0x64006400, v27
	v_pk_add_f16 v79, v67, v69
	v_and_b32_e32 v69, 0xf000f, v29
	v_and_b32_e32 v29, 0xf000f0, v29
	v_pk_add_f16 v71, v68, v26
	v_pk_fma_f16 v72, v27, s19, v15 op_sel_hi:[1,0,1]
	ds_read2_b32 v[26:27], v28 offset0:12 offset1:13
	v_or_b32_e32 v29, 0x64006400, v29
	v_or_b32_e32 v69, 0x64006400, v69
	v_pk_fma_f16 v76, v29, s19, v16 op_sel_hi:[1,0,1]
	v_lshrrev_b32_e32 v29, 8, v85
	ds_read2_b32 v[84:85], v28 offset0:14 offset1:15
	v_pk_add_f16 v75, v66, v69
	v_and_b32_e32 v69, 0xf000f, v29
	v_and_b32_e32 v29, 0xf000f0, v29
	v_or_b32_e32 v29, 0x64006400, v29
	v_pk_fma_f16 v70, v29, s19, v15 op_sel_hi:[1,0,1]
	s_waitcnt lgkmcnt(1)
	v_pk_fma_f16 v29, v31, v26, 0
	v_or_b32_e32 v69, 0x64006400, v69
	v_pk_fma_f16 v29, v30, v27, v29
	v_pk_add_f16 v69, v68, v69
	s_waitcnt lgkmcnt(0)
	v_pk_fma_f16 v29, v81, v84, v29
	v_cvt_f32_f16_sdwa v3, v1 dst_sel:DWORD dst_unused:UNUSED_PAD src0_sel:WORD_1
	v_pk_fma_f16 v29, v82, v85, v29
	v_cvt_f32_f16_e32 v1, v1
	v_cvt_f32_f16_e32 v83, v29
	v_cvt_f32_f16_sdwa v29, v29 dst_sel:DWORD dst_unused:UNUSED_PAD src0_sel:WORD_1
	v_pk_add_f32 v[0:1], v[0:1], v[2:3]
	s_nop 0
	v_pk_fma_f32 v[0:1], v[0:1], v[12:13], v[6:7]
	v_add_f32_e32 v29, v29, v83
	v_fmac_f32_e32 v60, v29, v10
	v_pk_fma_f16 v29, v77, v26, 0
	s_nop 0
	v_pk_fma_f16 v29, v78, v27, v29
	s_nop 0
	;; [unrolled: 2-line block ×4, first 2 shown]
	v_cvt_f32_f16_e32 v83, v29
	v_cvt_f32_f16_sdwa v29, v29 dst_sel:DWORD dst_unused:UNUSED_PAD src0_sel:WORD_1
	v_add_f32_e32 v29, v29, v83
	v_fmac_f32_e32 v61, v29, v5
	v_pk_fma_f16 v29, v73, v26, 0
	v_pk_fma_f16 v26, v71, v26, 0
	;; [unrolled: 1-line block ×8, first 2 shown]
	v_cvt_f32_f16_e32 v83, v29
	v_cvt_f32_f16_e32 v27, v26
	v_cvt_f32_f16_sdwa v26, v26 dst_sel:DWORD dst_unused:UNUSED_PAD src0_sel:WORD_1
	v_cvt_f32_f16_sdwa v29, v29 dst_sel:DWORD dst_unused:UNUSED_PAD src0_sel:WORD_1
	ds_read2_b32 v[84:85], v28 offset0:78 offset1:79
	v_add_f32_e32 v26, v26, v27
	v_fmac_f32_e32 v59, v26, v13
	ds_read2_b32 v[26:27], v28 offset0:76 offset1:77
	v_add_f32_e32 v29, v29, v83
	v_fmac_f32_e32 v58, v29, v12
	s_waitcnt lgkmcnt(0)
	v_pk_fma_f16 v29, v31, v26, 0
	s_nop 0
	v_pk_fma_f16 v29, v30, v27, v29
	s_nop 0
	;; [unrolled: 2-line block ×4, first 2 shown]
	v_cvt_f32_f16_e32 v83, v29
	v_cvt_f32_f16_sdwa v29, v29 dst_sel:DWORD dst_unused:UNUSED_PAD src0_sel:WORD_1
	v_add_f32_e32 v29, v29, v83
	v_fmac_f32_e32 v56, v29, v10
	v_pk_fma_f16 v29, v77, v26, 0
	s_nop 0
	v_pk_fma_f16 v29, v78, v27, v29
	s_nop 0
	;; [unrolled: 2-line block ×4, first 2 shown]
	v_cvt_f32_f16_e32 v83, v29
	v_cvt_f32_f16_sdwa v29, v29 dst_sel:DWORD dst_unused:UNUSED_PAD src0_sel:WORD_1
	v_add_f32_e32 v29, v29, v83
	v_fmac_f32_e32 v57, v29, v5
	v_pk_fma_f16 v29, v73, v26, 0
	v_pk_fma_f16 v26, v71, v26, 0
	;; [unrolled: 1-line block ×8, first 2 shown]
	v_cvt_f32_f16_e32 v83, v29
	v_cvt_f32_f16_e32 v27, v26
	v_cvt_f32_f16_sdwa v26, v26 dst_sel:DWORD dst_unused:UNUSED_PAD src0_sel:WORD_1
	v_cvt_f32_f16_sdwa v29, v29 dst_sel:DWORD dst_unused:UNUSED_PAD src0_sel:WORD_1
	ds_read2_b32 v[84:85], v28 offset0:142 offset1:143
	v_add_f32_e32 v26, v26, v27
	v_fmac_f32_e32 v54, v26, v13
	ds_read2_b32 v[26:27], v28 offset0:140 offset1:141
	v_add_f32_e32 v29, v29, v83
	v_fmac_f32_e32 v53, v29, v12
	s_waitcnt lgkmcnt(0)
	v_pk_fma_f16 v29, v31, v26, 0
	s_nop 0
	v_pk_fma_f16 v29, v30, v27, v29
	s_nop 0
	;; [unrolled: 2-line block ×4, first 2 shown]
	v_cvt_f32_f16_e32 v83, v29
	v_cvt_f32_f16_sdwa v29, v29 dst_sel:DWORD dst_unused:UNUSED_PAD src0_sel:WORD_1
	v_add_f32_e32 v29, v29, v83
	v_fmac_f32_e32 v51, v29, v10
	v_pk_fma_f16 v29, v77, v26, 0
	s_nop 0
	v_pk_fma_f16 v29, v78, v27, v29
	s_nop 0
	;; [unrolled: 2-line block ×4, first 2 shown]
	v_cvt_f32_f16_e32 v83, v29
	v_cvt_f32_f16_sdwa v29, v29 dst_sel:DWORD dst_unused:UNUSED_PAD src0_sel:WORD_1
	v_add_f32_e32 v29, v29, v83
	v_fmac_f32_e32 v52, v29, v5
	v_pk_fma_f16 v29, v73, v26, 0
	v_pk_fma_f16 v26, v71, v26, 0
	;; [unrolled: 1-line block ×8, first 2 shown]
	v_cvt_f32_f16_e32 v83, v29
	v_cvt_f32_f16_e32 v27, v26
	v_cvt_f32_f16_sdwa v26, v26 dst_sel:DWORD dst_unused:UNUSED_PAD src0_sel:WORD_1
	v_cvt_f32_f16_sdwa v29, v29 dst_sel:DWORD dst_unused:UNUSED_PAD src0_sel:WORD_1
	v_add_f32_e32 v26, v26, v27
	v_fmac_f32_e32 v50, v26, v13
	ds_read2_b32 v[26:27], v28 offset0:204 offset1:205
	v_add_f32_e32 v29, v29, v83
	v_fmac_f32_e32 v49, v29, v12
	s_waitcnt lgkmcnt(0)
	v_pk_fma_f16 v29, v31, v26, 0
	s_nop 0
	v_pk_fma_f16 v83, v30, v27, v29
	ds_read2_b32 v[28:29], v28 offset0:206 offset1:207
	s_waitcnt lgkmcnt(0)
	v_pk_fma_f16 v83, v81, v28, v83
	s_nop 0
	v_pk_fma_f16 v83, v82, v29, v83
	s_nop 0
	v_cvt_f32_f16_e32 v84, v83
	v_cvt_f32_f16_sdwa v83, v83 dst_sel:DWORD dst_unused:UNUSED_PAD src0_sel:WORD_1
	v_add_f32_e32 v83, v83, v84
	v_fmac_f32_e32 v47, v83, v10
	v_pk_fma_f16 v83, v77, v26, 0
	s_nop 0
	v_pk_fma_f16 v83, v78, v27, v83
	s_nop 0
	v_pk_fma_f16 v83, v79, v28, v83
	s_nop 0
	v_pk_fma_f16 v83, v80, v29, v83
	s_nop 0
	v_cvt_f32_f16_e32 v84, v83
	v_cvt_f32_f16_sdwa v83, v83 dst_sel:DWORD dst_unused:UNUSED_PAD src0_sel:WORD_1
	v_add_f32_e32 v83, v83, v84
	v_fmac_f32_e32 v48, v83, v5
	v_pk_fma_f16 v83, v73, v26, 0
	v_pk_fma_f16 v26, v71, v26, 0
	v_pk_fma_f16 v83, v74, v27, v83
	v_pk_fma_f16 v26, v72, v27, v26
	v_pk_fma_f16 v83, v75, v28, v83
	v_pk_fma_f16 v26, v69, v28, v26
	v_pk_fma_f16 v83, v76, v29, v83
	v_pk_fma_f16 v26, v70, v29, v26
	v_cvt_f32_f16_e32 v84, v83
	v_cvt_f32_f16_e32 v27, v26
	v_cvt_f32_f16_sdwa v26, v26 dst_sel:DWORD dst_unused:UNUSED_PAD src0_sel:WORD_1
	v_cvt_f32_f16_sdwa v83, v83 dst_sel:DWORD dst_unused:UNUSED_PAD src0_sel:WORD_1
	v_add_f32_e32 v26, v26, v27
	v_fmac_f32_e32 v46, v26, v13
	v_mov_b32_e32 v26, s9
	ds_read2_b32 v[26:27], v26 offset1:1
	v_add_f32_e32 v83, v83, v84
	s_add_i32 s9, s6, 0x438
	v_fmac_f32_e32 v45, v83, v12
	s_waitcnt lgkmcnt(0)
	v_pk_fma_f16 v28, v31, v26, 0
	s_nop 0
	v_pk_fma_f16 v83, v30, v27, v28
	v_mov_b32_e32 v28, s9
	ds_read2_b32 v[28:29], v28 offset1:1
	s_add_i32 s9, s6, 0x530
	s_waitcnt lgkmcnt(0)
	v_pk_fma_f16 v83, v81, v28, v83
	s_nop 0
	v_pk_fma_f16 v83, v82, v29, v83
	s_nop 0
	v_cvt_f32_f16_e32 v84, v83
	v_cvt_f32_f16_sdwa v83, v83 dst_sel:DWORD dst_unused:UNUSED_PAD src0_sel:WORD_1
	v_add_f32_e32 v83, v83, v84
	v_fmac_f32_e32 v43, v83, v10
	v_pk_fma_f16 v83, v77, v26, 0
	s_nop 0
	v_pk_fma_f16 v83, v78, v27, v83
	s_nop 0
	v_pk_fma_f16 v83, v79, v28, v83
	s_nop 0
	v_pk_fma_f16 v83, v80, v29, v83
	s_nop 0
	v_cvt_f32_f16_e32 v84, v83
	v_cvt_f32_f16_sdwa v83, v83 dst_sel:DWORD dst_unused:UNUSED_PAD src0_sel:WORD_1
	v_add_f32_e32 v83, v83, v84
	v_fmac_f32_e32 v44, v83, v5
	v_pk_fma_f16 v83, v73, v26, 0
	v_pk_fma_f16 v26, v71, v26, 0
	v_pk_fma_f16 v83, v74, v27, v83
	v_pk_fma_f16 v26, v72, v27, v26
	v_pk_fma_f16 v83, v75, v28, v83
	v_pk_fma_f16 v26, v69, v28, v26
	v_pk_fma_f16 v83, v76, v29, v83
	v_pk_fma_f16 v26, v70, v29, v26
	v_cvt_f32_f16_e32 v84, v83
	v_cvt_f32_f16_e32 v27, v26
	v_cvt_f32_f16_sdwa v26, v26 dst_sel:DWORD dst_unused:UNUSED_PAD src0_sel:WORD_1
	v_cvt_f32_f16_sdwa v83, v83 dst_sel:DWORD dst_unused:UNUSED_PAD src0_sel:WORD_1
	v_add_f32_e32 v26, v26, v27
	v_fmac_f32_e32 v42, v26, v13
	v_mov_b32_e32 v26, s9
	ds_read2_b32 v[26:27], v26 offset1:1
	v_add_f32_e32 v83, v83, v84
	s_add_i32 s9, s6, 0x538
	v_fmac_f32_e32 v41, v83, v12
	s_waitcnt lgkmcnt(0)
	v_pk_fma_f16 v28, v31, v26, 0
	s_nop 0
	v_pk_fma_f16 v83, v30, v27, v28
	v_mov_b32_e32 v28, s9
	ds_read2_b32 v[28:29], v28 offset1:1
	s_add_i32 s9, s6, 0x630
	;; [unrolled: 47-line block ×3, first 2 shown]
	s_waitcnt lgkmcnt(0)
	v_pk_fma_f16 v83, v81, v28, v83
	s_nop 0
	v_pk_fma_f16 v83, v82, v29, v83
	s_nop 0
	v_cvt_f32_f16_e32 v84, v83
	v_cvt_f32_f16_sdwa v83, v83 dst_sel:DWORD dst_unused:UNUSED_PAD src0_sel:WORD_1
	v_add_f32_e32 v83, v83, v84
	v_fmac_f32_e32 v36, v83, v10
	v_pk_fma_f16 v83, v77, v26, 0
	s_nop 0
	v_pk_fma_f16 v83, v78, v27, v83
	s_nop 0
	;; [unrolled: 2-line block ×4, first 2 shown]
	v_cvt_f32_f16_e32 v84, v83
	v_cvt_f32_f16_sdwa v83, v83 dst_sel:DWORD dst_unused:UNUSED_PAD src0_sel:WORD_1
	v_add_f32_e32 v83, v83, v84
	v_fmac_f32_e32 v37, v83, v5
	v_pk_fma_f16 v83, v73, v26, 0
	v_pk_fma_f16 v26, v71, v26, 0
	;; [unrolled: 1-line block ×8, first 2 shown]
	v_cvt_f32_f16_e32 v84, v83
	v_cvt_f32_f16_e32 v27, v26
	v_cvt_f32_f16_sdwa v26, v26 dst_sel:DWORD dst_unused:UNUSED_PAD src0_sel:WORD_1
	v_cvt_f32_f16_sdwa v83, v83 dst_sel:DWORD dst_unused:UNUSED_PAD src0_sel:WORD_1
	v_add_f32_e32 v26, v26, v27
	v_fmac_f32_e32 v33, v26, v13
	v_mov_b32_e32 v26, s9
	v_add_f32_e32 v83, v83, v84
	ds_read2_b32 v[84:85], v26 offset1:1
	s_add_i32 s9, s6, 0x738
	v_mov_b32_e32 v27, s9
	s_add_i32 s6, s6, 64
	v_fmac_f32_e32 v34, v83, v12
	s_waitcnt lgkmcnt(0)
	v_pk_fma_f16 v26, v31, v84, 0
	s_cmp_ge_i32 s25, s26
	v_pk_fma_f16 v26, v30, v85, v26
	ds_read2_b32 v[30:31], v27 offset1:1
	s_waitcnt lgkmcnt(0)
	v_pk_fma_f16 v26, v81, v30, v26
	s_nop 0
	v_pk_fma_f16 v26, v82, v31, v26
	s_nop 0
	v_cvt_f32_f16_e32 v27, v26
	v_cvt_f32_f16_sdwa v26, v26 dst_sel:DWORD dst_unused:UNUSED_PAD src0_sel:WORD_1
	v_add_f32_e32 v26, v26, v27
	v_fmac_f32_e32 v17, v26, v10
	v_pk_fma_f16 v26, v77, v84, 0
	s_nop 0
	v_pk_fma_f16 v26, v78, v85, v26
	s_nop 0
	;; [unrolled: 2-line block ×4, first 2 shown]
	v_cvt_f32_f16_e32 v27, v26
	v_cvt_f32_f16_sdwa v26, v26 dst_sel:DWORD dst_unused:UNUSED_PAD src0_sel:WORD_1
	v_add_f32_e32 v26, v26, v27
	v_fmac_f32_e32 v32, v26, v5
	v_pk_fma_f16 v26, v73, v84, 0
	s_nop 0
	v_pk_fma_f16 v26, v74, v85, v26
	s_nop 0
	;; [unrolled: 2-line block ×4, first 2 shown]
	v_cvt_f32_f16_e32 v26, v27
	v_cvt_f32_f16_sdwa v28, v27 dst_sel:DWORD dst_unused:UNUSED_PAD src0_sel:WORD_1
	v_pk_fma_f16 v27, v71, v84, 0
	s_nop 0
	v_pk_fma_f16 v27, v72, v85, v27
	s_nop 0
	;; [unrolled: 2-line block ×4, first 2 shown]
	v_cvt_f32_f16_sdwa v29, v27 dst_sel:DWORD dst_unused:UNUSED_PAD src0_sel:WORD_1
	v_cvt_f32_f16_e32 v27, v27
	v_pk_add_f32 v[2:3], v[26:27], v[28:29]
	s_nop 0
	v_pk_fma_f32 v[6:7], v[2:3], v[12:13], v[0:1]
	s_cbranch_scc1 .LBB45_24
.LBB45_22:                              ; =>This Inner Loop Header: Depth=1
	s_cmp_lg_u32 s25, s8
	s_cbranch_scc1 .LBB45_21
; %bb.23:                               ;   in Loop: Header=BB45_22 Depth=1
	s_add_i32 s5, s5, 1
	s_mul_i32 s9, s5, s16
	s_ashr_i32 s17, s9, 31
	s_lshr_b32 s17, s17, 29
	s_add_i32 s17, s9, s17
	s_ashr_i32 s17, s17, 3
	v_add_u32_e32 v0, s9, v4
	v_add_u32_e32 v2, s17, v55
	v_ashrrev_i32_e32 v1, 31, v0
	v_ashrrev_i32_e32 v3, 31, v2
	v_lshl_add_u64 v[0:1], v[0:1], 1, s[12:13]
	v_lshl_add_u64 v[2:3], v[2:3], 2, s[10:11]
	global_load_dwordx2 v[0:1], v[0:1], off
	s_add_i32 s8, s8, s4
	global_load_dword v2, v[2:3], off
	s_waitcnt vmcnt(1)
	v_cvt_f32_f16_e32 v10, v0
	v_cvt_f32_f16_sdwa v5, v0 dst_sel:DWORD dst_unused:UNUSED_PAD src0_sel:WORD_1
	s_waitcnt vmcnt(0)
	v_lshrrev_b32_e32 v0, v63, v2
	v_cvt_f32_f16_e32 v12, v1
	v_cvt_f32_f16_sdwa v13, v1 dst_sel:DWORD dst_unused:UNUSED_PAD src0_sel:WORD_1
	v_lshrrev_b32_e32 v1, 4, v0
	v_and_b32_e32 v2, 15, v0
	v_lshrrev_b32_e32 v3, 12, v0
	v_lshrrev_b32_e32 v0, 8, v0
	v_and_b32_e32 v1, 15, v1
	v_and_b32_e32 v3, 15, v3
	;; [unrolled: 1-line block ×3, first 2 shown]
	v_add_u32_e32 v2, v2, v64
	v_add_u32_e32 v1, v1, v64
	;; [unrolled: 1-line block ×4, first 2 shown]
	v_mad_u32_u24 v65, v2, s18, v62
	v_cvt_f32_ubyte0_e32 v2, v2
	v_cvt_f32_ubyte0_e32 v11, v1
	v_mad_u32_u24 v67, v1, s18, v62
	v_mad_u32_u24 v66, v0, s18, v62
	v_cvt_f32_ubyte0_e32 v1, v3
	v_cvt_f32_ubyte0_e32 v0, v0
	v_cvt_pk_f16_f32 v2, v2, v11
	v_cvt_pk_f16_f32 v0, v0, v1
	v_pk_add_f16 v1, v2, s7 op_sel_hi:[1,0] neg_lo:[1,0] neg_hi:[1,0]
	v_pk_add_f16 v0, v0, s7 op_sel_hi:[1,0] neg_lo:[1,0] neg_hi:[1,0]
	v_mad_u32_u24 v68, v3, s18, v62
	v_mul_u32_u24_sdwa v14, v1, s18 dst_sel:DWORD dst_unused:UNUSED_PAD src0_sel:WORD_0 src1_sel:DWORD
	v_mul_u32_u24_sdwa v11, v1, s18 dst_sel:DWORD dst_unused:UNUSED_PAD src0_sel:WORD_1 src1_sel:DWORD
	v_mul_u32_u24_sdwa v16, v0, s18 dst_sel:DWORD dst_unused:UNUSED_PAD src0_sel:WORD_0 src1_sel:DWORD
	v_mul_u32_u24_sdwa v15, v0, s18 dst_sel:DWORD dst_unused:UNUSED_PAD src0_sel:WORD_1 src1_sel:DWORD
	s_branch .LBB45_21
.LBB45_24:
	s_mul_i32 s24, s24, s16
	v_add_u32_e32 v0, s24, v4
	v_ashrrev_i32_e32 v1, 31, v0
	v_lshl_add_u64 v[2:3], v[0:1], 1, s[14:15]
	global_load_dword v5, v[2:3], off
	v_cvt_pk_f16_f32 v1, v60, v61
	s_mov_b64 s[0:1], 0
.LBB45_25:                              ; =>This Inner Loop Header: Depth=1
	s_waitcnt vmcnt(0)
	v_pk_add_f16 v4, v1, v5
	global_atomic_cmpswap v4, v[2:3], v[4:5], off sc0
	s_waitcnt vmcnt(0)
	v_cmp_eq_u32_e32 vcc, v5, v4
	s_or_b64 s[0:1], vcc, s[0:1]
	v_mov_b32_e32 v5, v4
	s_andn2_b64 exec, exec, s[0:1]
	s_cbranch_execnz .LBB45_25
; %bb.26:
	s_or_b64 exec, exec, s[0:1]
	global_load_dword v5, v[2:3], off offset:4
	v_cvt_pk_f16_f32 v1, v58, v59
	s_mov_b64 s[0:1], 0
.LBB45_27:                              ; =>This Inner Loop Header: Depth=1
	s_waitcnt vmcnt(0)
	v_pk_add_f16 v4, v1, v5
	global_atomic_cmpswap v4, v[2:3], v[4:5], off offset:4 sc0
	s_waitcnt vmcnt(0)
	v_cmp_eq_u32_e32 vcc, v5, v4
	s_or_b64 s[0:1], vcc, s[0:1]
	v_mov_b32_e32 v5, v4
	s_andn2_b64 exec, exec, s[0:1]
	s_cbranch_execnz .LBB45_27
; %bb.28:
	s_or_b64 exec, exec, s[0:1]
	v_add_u32_e32 v0, s16, v0
	v_ashrrev_i32_e32 v1, 31, v0
	v_lshl_add_u64 v[2:3], v[0:1], 1, s[14:15]
	global_load_dword v5, v[2:3], off
	v_cvt_pk_f16_f32 v1, v56, v57
	s_mov_b64 s[0:1], 0
.LBB45_29:                              ; =>This Inner Loop Header: Depth=1
	s_waitcnt vmcnt(0)
	v_pk_add_f16 v4, v1, v5
	global_atomic_cmpswap v4, v[2:3], v[4:5], off sc0
	s_waitcnt vmcnt(0)
	v_cmp_eq_u32_e32 vcc, v5, v4
	s_or_b64 s[0:1], vcc, s[0:1]
	v_mov_b32_e32 v5, v4
	s_andn2_b64 exec, exec, s[0:1]
	s_cbranch_execnz .LBB45_29
; %bb.30:
	s_or_b64 exec, exec, s[0:1]
	global_load_dword v5, v[2:3], off offset:4
	v_cvt_pk_f16_f32 v1, v53, v54
	s_mov_b64 s[0:1], 0
.LBB45_31:                              ; =>This Inner Loop Header: Depth=1
	s_waitcnt vmcnt(0)
	v_pk_add_f16 v4, v1, v5
	global_atomic_cmpswap v4, v[2:3], v[4:5], off offset:4 sc0
	s_waitcnt vmcnt(0)
	v_cmp_eq_u32_e32 vcc, v5, v4
	s_or_b64 s[0:1], vcc, s[0:1]
	v_mov_b32_e32 v5, v4
	s_andn2_b64 exec, exec, s[0:1]
	s_cbranch_execnz .LBB45_31
; %bb.32:
	s_or_b64 exec, exec, s[0:1]
	;; [unrolled: 33-line block ×7, first 2 shown]
	v_add_u32_e32 v0, s16, v0
	v_ashrrev_i32_e32 v1, 31, v0
	v_lshl_add_u64 v[0:1], v[0:1], 1, s[14:15]
	global_load_dword v3, v[0:1], off
	v_cvt_pk_f16_f32 v4, v17, v32
	s_mov_b64 s[0:1], 0
.LBB45_53:                              ; =>This Inner Loop Header: Depth=1
	s_waitcnt vmcnt(0)
	v_pk_add_f16 v2, v4, v3
	global_atomic_cmpswap v2, v[0:1], v[2:3], off sc0
	s_waitcnt vmcnt(0)
	v_cmp_eq_u32_e32 vcc, v3, v2
	s_or_b64 s[0:1], vcc, s[0:1]
	v_mov_b32_e32 v3, v2
	s_andn2_b64 exec, exec, s[0:1]
	s_cbranch_execnz .LBB45_53
; %bb.54:
	s_or_b64 exec, exec, s[0:1]
	global_load_dword v3, v[0:1], off offset:4
	v_cvt_pk_f16_f32 v4, v6, v7
	s_mov_b64 s[0:1], 0
.LBB45_55:                              ; =>This Inner Loop Header: Depth=1
	s_waitcnt vmcnt(0)
	v_pk_add_f16 v2, v4, v3
	global_atomic_cmpswap v2, v[0:1], v[2:3], off offset:4 sc0
	s_waitcnt vmcnt(0)
	v_cmp_eq_u32_e32 vcc, v3, v2
	s_or_b64 s[0:1], vcc, s[0:1]
	v_mov_b32_e32 v3, v2
	s_andn2_b64 exec, exec, s[0:1]
	s_cbranch_execnz .LBB45_55
.LBB45_56:
	s_endpgm
	.section	.rodata,"a",@progbits
	.p2align	6, 0x0
	.amdhsa_kernel _ZN4vllm4gptq33gemm_half_q_half_gptq_4bit_kernelILb1ELi8EEEvPK6__halfPKjS6_S4_PS2_iiiibPKi
		.amdhsa_group_segment_fixed_size 2048
		.amdhsa_private_segment_fixed_size 0
		.amdhsa_kernarg_size 72
		.amdhsa_user_sgpr_count 2
		.amdhsa_user_sgpr_dispatch_ptr 0
		.amdhsa_user_sgpr_queue_ptr 0
		.amdhsa_user_sgpr_kernarg_segment_ptr 1
		.amdhsa_user_sgpr_dispatch_id 0
		.amdhsa_user_sgpr_kernarg_preload_length 0
		.amdhsa_user_sgpr_kernarg_preload_offset 0
		.amdhsa_user_sgpr_private_segment_size 0
		.amdhsa_uses_dynamic_stack 0
		.amdhsa_enable_private_segment 0
		.amdhsa_system_sgpr_workgroup_id_x 1
		.amdhsa_system_sgpr_workgroup_id_y 1
		.amdhsa_system_sgpr_workgroup_id_z 1
		.amdhsa_system_sgpr_workgroup_info 0
		.amdhsa_system_vgpr_workitem_id 0
		.amdhsa_next_free_vgpr 86
		.amdhsa_next_free_sgpr 27
		.amdhsa_accum_offset 88
		.amdhsa_reserve_vcc 1
		.amdhsa_float_round_mode_32 0
		.amdhsa_float_round_mode_16_64 0
		.amdhsa_float_denorm_mode_32 3
		.amdhsa_float_denorm_mode_16_64 3
		.amdhsa_dx10_clamp 1
		.amdhsa_ieee_mode 1
		.amdhsa_fp16_overflow 0
		.amdhsa_tg_split 0
		.amdhsa_exception_fp_ieee_invalid_op 0
		.amdhsa_exception_fp_denorm_src 0
		.amdhsa_exception_fp_ieee_div_zero 0
		.amdhsa_exception_fp_ieee_overflow 0
		.amdhsa_exception_fp_ieee_underflow 0
		.amdhsa_exception_fp_ieee_inexact 0
		.amdhsa_exception_int_div_zero 0
	.end_amdhsa_kernel
	.section	.text._ZN4vllm4gptq33gemm_half_q_half_gptq_4bit_kernelILb1ELi8EEEvPK6__halfPKjS6_S4_PS2_iiiibPKi,"axG",@progbits,_ZN4vllm4gptq33gemm_half_q_half_gptq_4bit_kernelILb1ELi8EEEvPK6__halfPKjS6_S4_PS2_iiiibPKi,comdat
.Lfunc_end45:
	.size	_ZN4vllm4gptq33gemm_half_q_half_gptq_4bit_kernelILb1ELi8EEEvPK6__halfPKjS6_S4_PS2_iiiibPKi, .Lfunc_end45-_ZN4vllm4gptq33gemm_half_q_half_gptq_4bit_kernelILb1ELi8EEEvPK6__halfPKjS6_S4_PS2_iiiibPKi
                                        ; -- End function
	.set _ZN4vllm4gptq33gemm_half_q_half_gptq_4bit_kernelILb1ELi8EEEvPK6__halfPKjS6_S4_PS2_iiiibPKi.num_vgpr, 86
	.set _ZN4vllm4gptq33gemm_half_q_half_gptq_4bit_kernelILb1ELi8EEEvPK6__halfPKjS6_S4_PS2_iiiibPKi.num_agpr, 0
	.set _ZN4vllm4gptq33gemm_half_q_half_gptq_4bit_kernelILb1ELi8EEEvPK6__halfPKjS6_S4_PS2_iiiibPKi.numbered_sgpr, 27
	.set _ZN4vllm4gptq33gemm_half_q_half_gptq_4bit_kernelILb1ELi8EEEvPK6__halfPKjS6_S4_PS2_iiiibPKi.num_named_barrier, 0
	.set _ZN4vllm4gptq33gemm_half_q_half_gptq_4bit_kernelILb1ELi8EEEvPK6__halfPKjS6_S4_PS2_iiiibPKi.private_seg_size, 0
	.set _ZN4vllm4gptq33gemm_half_q_half_gptq_4bit_kernelILb1ELi8EEEvPK6__halfPKjS6_S4_PS2_iiiibPKi.uses_vcc, 1
	.set _ZN4vllm4gptq33gemm_half_q_half_gptq_4bit_kernelILb1ELi8EEEvPK6__halfPKjS6_S4_PS2_iiiibPKi.uses_flat_scratch, 0
	.set _ZN4vllm4gptq33gemm_half_q_half_gptq_4bit_kernelILb1ELi8EEEvPK6__halfPKjS6_S4_PS2_iiiibPKi.has_dyn_sized_stack, 0
	.set _ZN4vllm4gptq33gemm_half_q_half_gptq_4bit_kernelILb1ELi8EEEvPK6__halfPKjS6_S4_PS2_iiiibPKi.has_recursion, 0
	.set _ZN4vllm4gptq33gemm_half_q_half_gptq_4bit_kernelILb1ELi8EEEvPK6__halfPKjS6_S4_PS2_iiiibPKi.has_indirect_call, 0
	.section	.AMDGPU.csdata,"",@progbits
; Kernel info:
; codeLenInByte = 13804
; TotalNumSgprs: 33
; NumVgprs: 86
; NumAgprs: 0
; TotalNumVgprs: 86
; ScratchSize: 0
; MemoryBound: 0
; FloatMode: 240
; IeeeMode: 1
; LDSByteSize: 2048 bytes/workgroup (compile time only)
; SGPRBlocks: 4
; VGPRBlocks: 10
; NumSGPRsForWavesPerEU: 33
; NumVGPRsForWavesPerEU: 86
; AccumOffset: 88
; Occupancy: 5
; WaveLimiterHint : 0
; COMPUTE_PGM_RSRC2:SCRATCH_EN: 0
; COMPUTE_PGM_RSRC2:USER_SGPR: 2
; COMPUTE_PGM_RSRC2:TRAP_HANDLER: 0
; COMPUTE_PGM_RSRC2:TGID_X_EN: 1
; COMPUTE_PGM_RSRC2:TGID_Y_EN: 1
; COMPUTE_PGM_RSRC2:TGID_Z_EN: 1
; COMPUTE_PGM_RSRC2:TIDIG_COMP_CNT: 0
; COMPUTE_PGM_RSRC3_GFX90A:ACCUM_OFFSET: 21
; COMPUTE_PGM_RSRC3_GFX90A:TG_SPLIT: 0
	.section	.text._ZN4vllm4gptq33gemm_half_q_half_gptq_8bit_kernelILb1ELi8EEEvPK6__halfPKjS6_S4_PS2_iiiibPKi,"axG",@progbits,_ZN4vllm4gptq33gemm_half_q_half_gptq_8bit_kernelILb1ELi8EEEvPK6__halfPKjS6_S4_PS2_iiiibPKi,comdat
	.protected	_ZN4vllm4gptq33gemm_half_q_half_gptq_8bit_kernelILb1ELi8EEEvPK6__halfPKjS6_S4_PS2_iiiibPKi ; -- Begin function _ZN4vllm4gptq33gemm_half_q_half_gptq_8bit_kernelILb1ELi8EEEvPK6__halfPKjS6_S4_PS2_iiiibPKi
	.globl	_ZN4vllm4gptq33gemm_half_q_half_gptq_8bit_kernelILb1ELi8EEEvPK6__halfPKjS6_S4_PS2_iiiibPKi
	.p2align	8
	.type	_ZN4vllm4gptq33gemm_half_q_half_gptq_8bit_kernelILb1ELi8EEEvPK6__halfPKjS6_S4_PS2_iiiibPKi,@function
_ZN4vllm4gptq33gemm_half_q_half_gptq_8bit_kernelILb1ELi8EEEvPK6__halfPKjS6_S4_PS2_iiiibPKi: ; @_ZN4vllm4gptq33gemm_half_q_half_gptq_8bit_kernelILb1ELi8EEEvPK6__halfPKjS6_S4_PS2_iiiibPKi
; %bb.0:
	s_load_dwordx8 s[8:15], s[0:1], 0x8
	s_load_dwordx4 s[16:19], s[0:1], 0x2c
	s_lshl_b32 s24, s4, 7
	s_add_i32 s4, s24, 0x80
	v_cvt_f64_u32_e32 v[2:3], s4
	s_lshl_b32 s3, s3, 3
	s_waitcnt lgkmcnt(0)
	v_cvt_f64_i32_e32 v[4:5], s17
	v_min_f64 v[2:3], v[2:3], v[4:5]
	v_cvt_i32_f64_e32 v1, v[2:3]
	v_add_u32_e32 v2, s24, v0
	v_readfirstlane_b32 s25, v1
	v_cmp_lt_u32_e32 vcc, v2, v1
	s_and_saveexec_b64 s[4:5], vcc
	s_cbranch_execz .LBB46_18
; %bb.1:
	s_load_dwordx2 s[22:23], s[0:1], 0x40
	s_load_dwordx2 s[6:7], s[0:1], 0x0
	v_mov_b32_e32 v3, 0
	v_mov_b64_e32 v[6:7], v[2:3]
	s_waitcnt lgkmcnt(0)
	s_cmp_lg_u64 s[22:23], 0
	s_cselect_b64 s[20:21], -1, 0
	s_cmp_eq_u64 s[22:23], 0
	v_lshl_add_u64 v[4:5], v[2:3], 2, s[22:23]
	s_cbranch_scc1 .LBB46_3
; %bb.2:
	global_load_dword v6, v[4:5], off
	s_waitcnt vmcnt(0)
	v_ashrrev_i32_e32 v7, 31, v6
.LBB46_3:
	s_mul_i32 s22, s3, s17
	s_ashr_i32 s23, s22, 31
	s_lshl_b64 s[0:1], s[22:23], 1
	s_add_u32 s0, s6, s0
	s_addc_u32 s1, s7, s1
	v_lshl_add_u64 v[6:7], v[6:7], 1, s[0:1]
	global_load_ushort v6, v[6:7], off
	v_lshlrev_b32_e32 v1, 1, v0
	v_cndmask_b32_e64 v7, 0, 1, s[20:21]
	v_cmp_ne_u32_e64 s[0:1], 1, v7
	s_andn2_b64 vcc, exec, s[20:21]
	s_waitcnt vmcnt(0)
	ds_write_b16 v1, v6
	v_mov_b64_e32 v[6:7], v[2:3]
	s_cbranch_vccnz .LBB46_5
; %bb.4:
	global_load_dword v6, v[4:5], off
	s_waitcnt vmcnt(0)
	v_ashrrev_i32_e32 v7, 31, v6
.LBB46_5:
	s_add_i32 s20, s22, s17
	s_ashr_i32 s21, s20, 31
	s_lshl_b64 s[22:23], s[20:21], 1
	s_add_u32 s22, s6, s22
	s_addc_u32 s23, s7, s23
	v_lshl_add_u64 v[6:7], v[6:7], 1, s[22:23]
	global_load_ushort v6, v[6:7], off
	s_and_b64 vcc, exec, s[0:1]
	s_waitcnt vmcnt(0)
	ds_write_b16 v1, v6 offset:256
	v_mov_b64_e32 v[6:7], v[2:3]
	s_cbranch_vccnz .LBB46_7
; %bb.6:
	global_load_dword v6, v[4:5], off
	s_waitcnt vmcnt(0)
	v_ashrrev_i32_e32 v7, 31, v6
.LBB46_7:
	s_add_i32 s20, s20, s17
	s_ashr_i32 s21, s20, 31
	s_lshl_b64 s[22:23], s[20:21], 1
	s_add_u32 s22, s6, s22
	s_addc_u32 s23, s7, s23
	v_lshl_add_u64 v[6:7], v[6:7], 1, s[22:23]
	global_load_ushort v6, v[6:7], off
	s_and_b64 vcc, exec, s[0:1]
	s_waitcnt vmcnt(0)
	ds_write_b16 v1, v6 offset:512
	;; [unrolled: 17-line block ×6, first 2 shown]
	s_cbranch_vccnz .LBB46_17
; %bb.16:
	global_load_dword v2, v[4:5], off
	s_waitcnt vmcnt(0)
	v_ashrrev_i32_e32 v3, 31, v2
.LBB46_17:
	s_add_i32 s0, s20, s17
	s_ashr_i32 s1, s0, 31
	s_lshl_b64 s[0:1], s[0:1], 1
	s_add_u32 s0, s6, s0
	s_addc_u32 s1, s7, s1
	v_lshl_add_u64 v[2:3], v[2:3], 1, s[0:1]
	global_load_ushort v2, v[2:3], off
	s_waitcnt vmcnt(0)
	ds_write_b16 v1, v2 offset:1792
.LBB46_18:
	s_or_b64 exec, exec, s[4:5]
	v_lshlrev_b32_e32 v0, 2, v0
	v_lshl_add_u32 v16, s2, 9, v0
	v_cmp_gt_i32_e32 vcc, s16, v16
	s_and_saveexec_b64 s[0:1], vcc
	s_cbranch_execz .LBB46_56
; %bb.19:
	s_abs_i32 s0, s18
	v_cvt_f32_u32_e32 v0, s0
	s_mov_b32 s2, 0
	v_mov_b32_e32 v15, 0
	v_mov_b32_e32 v14, 0
	v_rcp_iflag_f32_e32 v0, v0
	v_mov_b32_e32 v55, 0
	v_mov_b32_e32 v54, 0
	s_cmp_ge_i32 s24, s25
	v_mul_f32_e32 v0, 0x4f7ffffe, v0
	v_cvt_u32_f32_e32 v0, v0
	v_mov_b32_e32 v57, 0
	v_mov_b32_e32 v56, 0
	;; [unrolled: 1-line block ×3, first 2 shown]
	v_readfirstlane_b32 s1, v0
	v_mov_b32_e32 v58, 0
	v_mov_b32_e32 v61, 0
	;; [unrolled: 1-line block ×9, first 2 shown]
	s_waitcnt lgkmcnt(0)
	s_barrier
	s_cbranch_scc1 .LBB46_24
; %bb.20:
	s_sub_i32 s7, 0, s0
	s_mul_i32 s7, s7, s1
	s_mul_hi_u32 s7, s1, s7
	s_abs_i32 s6, s17
	s_add_i32 s1, s1, s7
	s_ashr_i32 s4, s17, 31
	s_ashr_i32 s5, s18, 31
	s_mul_hi_u32 s1, s6, s1
	s_xor_b32 s4, s4, s5
	s_mul_i32 s5, s1, s0
	s_sub_i32 s5, s6, s5
	s_add_i32 s6, s1, 1
	s_sub_i32 s7, s5, s0
	s_cmp_ge_u32 s5, s0
	s_cselect_b32 s1, s6, s1
	s_cselect_b32 s5, s7, s5
	s_add_i32 s6, s1, 1
	s_cmp_ge_u32 s5, s0
	s_cselect_b32 s0, s6, s1
	s_xor_b32 s0, s0, s4
	s_sub_i32 s4, s0, s4
	v_cvt_f32_u32_e32 v0, s4
	s_bitcmp1_b32 s19, 0
	s_cselect_b64 s[0:1], -1, 0
	s_sub_i32 s5, 0, s4
	v_rcp_iflag_f32_e32 v0, v0
	s_xor_b64 s[0:1], s[0:1], -1
	v_ashrrev_i32_e32 v22, 2, v16
	v_cndmask_b32_e64 v23, 0, 1, s[0:1]
	v_mul_f32_e32 v0, 0x4f7ffffe, v0
	v_cvt_u32_f32_e32 v0, v0
	v_ashrrev_i32_e32 v17, 31, v16
	v_mov_b32_e32 v32, 0
	v_mov_b32_e32 v20, 0
	v_readfirstlane_b32 s6, v0
	s_mul_i32 s5, s5, s6
	s_mul_hi_u32 s5, s6, s5
	s_add_i32 s6, s6, s5
	s_mul_hi_u32 s5, s24, s6
	s_mul_i32 s6, s5, s4
	s_sub_i32 s6, s24, s6
	s_add_i32 s7, s5, 1
	s_sub_i32 s17, s6, s4
	s_cmp_ge_u32 s6, s4
	s_cselect_b32 s5, s7, s5
	s_cselect_b32 s6, s17, s6
	s_add_i32 s7, s5, 1
	s_cmp_ge_u32 s6, s4
	s_cselect_b32 s5, s7, s5
	s_mul_i32 s6, s5, s16
	s_ashr_i32 s7, s6, 31
	s_lshr_b32 s7, s7, 30
	s_add_i32 s7, s6, s7
	s_ashr_i32 s7, s7, 2
	v_add_u32_e32 v0, s7, v22
	v_ashrrev_i32_e32 v1, 31, v0
	v_lshl_add_u64 v[0:1], v[0:1], 2, s[10:11]
	global_load_dword v2, v[0:1], off
	v_add_u32_e32 v0, s6, v16
	v_ashrrev_i32_e32 v1, 31, v0
	v_lshl_add_u64 v[0:1], v[0:1], 1, s[12:13]
	global_load_dwordx2 v[18:19], v[0:1], off
	s_lshr_b32 s0, s24, 2
	s_mul_i32 s0, s16, s0
	s_ashr_i32 s1, s0, 31
	s_lshl_b64 s[0:1], s[0:1], 2
	s_add_u32 s0, s8, s0
	s_addc_u32 s1, s9, s1
	s_ashr_i32 s17, s16, 31
	v_mov_b32_e32 v64, 0
	v_mov_b32_e32 v65, 0
	;; [unrolled: 1-line block ×13, first 2 shown]
	s_add_i32 s6, s4, s24
	v_lshl_add_u64 v[0:1], v[16:17], 2, s[0:1]
	s_lshl_b64 s[0:1], s[16:17], 2
	v_mov_b32_e32 v15, 0
	s_waitcnt vmcnt(1)
	v_and_b32_e32 v17, 0xff, v2
	v_bfe_u32 v24, v2, 8, 8
	v_bfe_u32 v25, v2, 16, 8
	v_lshrrev_b32_e32 v26, 24, v2
	s_branch .LBB46_22
.LBB46_21:                              ;   in Loop: Header=BB46_22 Depth=1
	global_load_dwordx4 v[4:7], v[0:1], off
	v_lshl_add_u64 v[12:13], v[0:1], 0, s[0:1]
	global_load_dwordx4 v[0:3], v[12:13], off
	v_add_u32_e32 v31, v17, v23
	v_add_u32_e32 v30, v24, v23
	;; [unrolled: 1-line block ×4, first 2 shown]
	v_mov_b32_e32 v27, s2
	v_lshl_add_u64 v[12:13], v[12:13], 0, s[0:1]
	s_add_i32 s2, s2, 64
	s_add_i32 s24, s24, 32
	s_cmp_ge_i32 s24, s25
	s_waitcnt vmcnt(1)
	v_sub_u32_sdwa v8, v4, v31 dst_sel:DWORD dst_unused:UNUSED_PAD src0_sel:BYTE_0 src1_sel:DWORD
	v_cvt_f32_i32_e32 v8, v8
	v_cvt_f16_f32_e32 v21, v8
	v_sub_u32_sdwa v8, v4, v31 dst_sel:DWORD dst_unused:UNUSED_PAD src0_sel:BYTE_1 src1_sel:DWORD
	v_cvt_f32_i32_e32 v8, v8
	v_cvt_f16_f32_e32 v33, v8
	v_sub_u32_sdwa v8, v4, v31 dst_sel:DWORD dst_unused:UNUSED_PAD src0_sel:BYTE_2 src1_sel:DWORD
	v_sub_u32_sdwa v4, v4, v31 dst_sel:DWORD dst_unused:UNUSED_PAD src0_sel:BYTE_3 src1_sel:DWORD
	v_cvt_f32_i32_e32 v4, v4
	v_cvt_f32_i32_e32 v8, v8
	v_cvt_f16_f32_e32 v35, v4
	s_waitcnt vmcnt(0)
	v_sub_u32_sdwa v4, v0, v31 dst_sel:DWORD dst_unused:UNUSED_PAD src0_sel:BYTE_0 src1_sel:DWORD
	v_cvt_f32_i32_e32 v4, v4
	v_cvt_f16_f32_e32 v34, v8
	v_cvt_f16_f32_e32 v36, v4
	v_sub_u32_sdwa v4, v0, v31 dst_sel:DWORD dst_unused:UNUSED_PAD src0_sel:BYTE_1 src1_sel:DWORD
	v_cvt_f32_i32_e32 v4, v4
	v_cvt_f16_f32_e32 v37, v4
	v_sub_u32_sdwa v4, v0, v31 dst_sel:DWORD dst_unused:UNUSED_PAD src0_sel:BYTE_2 src1_sel:DWORD
	v_sub_u32_sdwa v0, v0, v31 dst_sel:DWORD dst_unused:UNUSED_PAD src0_sel:BYTE_3 src1_sel:DWORD
	v_cvt_f32_i32_e32 v0, v0
	v_cvt_f32_i32_e32 v4, v4
	v_cvt_f16_f32_e32 v39, v0
	v_sub_u32_sdwa v0, v5, v30 dst_sel:DWORD dst_unused:UNUSED_PAD src0_sel:BYTE_0 src1_sel:DWORD
	v_cvt_f32_i32_e32 v0, v0
	v_cvt_f16_f32_e32 v38, v4
	v_cvt_f16_f32_e32 v40, v0
	v_sub_u32_sdwa v0, v5, v30 dst_sel:DWORD dst_unused:UNUSED_PAD src0_sel:BYTE_1 src1_sel:DWORD
	v_cvt_f32_i32_e32 v0, v0
	v_cvt_f16_f32_e32 v41, v0
	v_sub_u32_sdwa v0, v5, v30 dst_sel:DWORD dst_unused:UNUSED_PAD src0_sel:BYTE_2 src1_sel:DWORD
	v_cvt_f32_i32_e32 v0, v0
	v_cvt_f16_f32_e32 v42, v0
	v_sub_u32_sdwa v0, v5, v30 dst_sel:DWORD dst_unused:UNUSED_PAD src0_sel:BYTE_3 src1_sel:DWORD
	v_cvt_f32_i32_e32 v0, v0
	v_cvt_f16_f32_e32 v43, v0
	v_sub_u32_sdwa v0, v1, v30 dst_sel:DWORD dst_unused:UNUSED_PAD src0_sel:BYTE_0 src1_sel:DWORD
	v_cvt_f32_i32_e32 v0, v0
	v_cvt_f16_f32_e32 v44, v0
	v_sub_u32_sdwa v0, v1, v30 dst_sel:DWORD dst_unused:UNUSED_PAD src0_sel:BYTE_1 src1_sel:DWORD
	v_cvt_f32_i32_e32 v0, v0
	v_cvt_f16_f32_e32 v45, v0
	v_sub_u32_sdwa v0, v1, v30 dst_sel:DWORD dst_unused:UNUSED_PAD src0_sel:BYTE_2 src1_sel:DWORD
	v_cvt_f32_i32_e32 v0, v0
	v_cvt_f16_f32_e32 v46, v0
	v_sub_u32_sdwa v0, v1, v30 dst_sel:DWORD dst_unused:UNUSED_PAD src0_sel:BYTE_3 src1_sel:DWORD
	v_cvt_f32_i32_e32 v0, v0
	v_cvt_f16_f32_e32 v47, v0
	v_sub_u32_sdwa v0, v6, v29 dst_sel:DWORD dst_unused:UNUSED_PAD src0_sel:BYTE_0 src1_sel:DWORD
	v_cvt_f32_i32_e32 v0, v0
	;; [unrolled: 12-line block ×5, first 2 shown]
	v_cvt_f16_f32_e32 v97, v0
	v_sub_u32_sdwa v0, v3, v28 dst_sel:DWORD dst_unused:UNUSED_PAD src0_sel:BYTE_1 src1_sel:DWORD
	v_cvt_f32_i32_e32 v0, v0
	v_cvt_f16_f32_e32 v99, v0
	v_sub_u32_sdwa v0, v3, v28 dst_sel:DWORD dst_unused:UNUSED_PAD src0_sel:BYTE_2 src1_sel:DWORD
	v_cvt_f32_i32_e32 v0, v0
	v_cvt_f16_f32_e32 v101, v0
	v_sub_u32_sdwa v0, v3, v28 dst_sel:DWORD dst_unused:UNUSED_PAD src0_sel:BYTE_3 src1_sel:DWORD
	v_cvt_f32_i32_e32 v0, v0
	v_cvt_f16_f32_e32 v103, v0
	ds_read_b128 v[68:71], v27
	ds_read_b128 v[8:11], v27 offset:16
	ds_read_b128 v[4:7], v27 offset:32
	;; [unrolled: 1-line block ×4, first 2 shown]
	s_waitcnt lgkmcnt(4)
	v_fma_mix_f32 v72, v21, v68, 0 op_sel_hi:[1,1,0]
	s_nop 0
	v_fma_mix_f32 v72, v33, v68, v72 op_sel:[0,1,0] op_sel_hi:[1,1,0]
	s_nop 0
	v_fma_mix_f32 v72, v34, v69, v72 op_sel_hi:[1,1,0]
	s_nop 0
	v_fma_mix_f32 v72, v35, v69, v72 op_sel:[0,1,0] op_sel_hi:[1,1,0]
	s_nop 0
	;; [unrolled: 4-line block ×4, first 2 shown]
	v_fma_mixlo_f16 v72, v72, v18, 0 op_sel_hi:[0,1,0]
	v_add_f16_e32 v96, v15, v72
	v_fma_mix_f32 v72, v40, v68, 0 op_sel_hi:[1,1,0]
	s_nop 0
	v_fma_mix_f32 v72, v41, v68, v72 op_sel:[0,1,0] op_sel_hi:[1,1,0]
	s_nop 0
	v_fma_mix_f32 v72, v42, v69, v72 op_sel_hi:[1,1,0]
	s_nop 0
	v_fma_mix_f32 v72, v43, v69, v72 op_sel:[0,1,0] op_sel_hi:[1,1,0]
	s_nop 0
	;; [unrolled: 4-line block ×4, first 2 shown]
	v_fma_mixlo_f16 v72, v72, v18, 0 op_sel:[0,1,0] op_sel_hi:[0,1,0]
	v_add_f16_sdwa v98, v15, v72 dst_sel:DWORD dst_unused:UNUSED_PAD src0_sel:WORD_1 src1_sel:DWORD
	v_fma_mix_f32 v15, v48, v68, 0 op_sel_hi:[1,1,0]
	ds_read_b128 v[72:75], v27 offset:256
	v_fma_mix_f32 v15, v49, v68, v15 op_sel:[0,1,0] op_sel_hi:[1,1,0]
	s_nop 0
	v_fma_mix_f32 v15, v50, v69, v15 op_sel_hi:[1,1,0]
	s_nop 0
	v_fma_mix_f32 v15, v51, v69, v15 op_sel:[0,1,0] op_sel_hi:[1,1,0]
	s_nop 0
	v_fma_mix_f32 v15, v52, v70, v15 op_sel_hi:[1,1,0]
	s_nop 0
	;; [unrolled: 4-line block ×3, first 2 shown]
	v_fma_mix_f32 v15, v67, v71, v15 op_sel:[0,1,0] op_sel_hi:[1,1,0]
	s_nop 0
	v_fma_mixlo_f16 v15, v15, v19, 0 op_sel_hi:[0,1,0]
	v_add_f16_e32 v100, v14, v15
	v_fma_mix_f32 v15, v92, v68, 0 op_sel_hi:[1,1,0]
	s_nop 0
	v_fma_mix_f32 v15, v93, v68, v15 op_sel:[0,1,0] op_sel_hi:[1,1,0]
	s_nop 0
	v_fma_mix_f32 v15, v94, v69, v15 op_sel_hi:[1,1,0]
	s_nop 0
	v_fma_mix_f32 v15, v95, v69, v15 op_sel:[0,1,0] op_sel_hi:[1,1,0]
	s_nop 0
	v_fma_mix_f32 v15, v97, v70, v15 op_sel_hi:[1,1,0]
	s_nop 0
	v_fma_mix_f32 v15, v99, v70, v15 op_sel:[0,1,0] op_sel_hi:[1,1,0]
	s_nop 0
	v_fma_mix_f32 v15, v101, v71, v15 op_sel_hi:[1,1,0]
	s_nop 0
	v_fma_mix_f32 v15, v103, v71, v15 op_sel:[0,1,0] op_sel_hi:[1,1,0]
	s_nop 0
	v_fma_mixlo_f16 v15, v15, v19, 0 op_sel:[0,1,0] op_sel_hi:[0,1,0]
	v_add_f16_sdwa v102, v14, v15 dst_sel:DWORD dst_unused:UNUSED_PAD src0_sel:WORD_1 src1_sel:DWORD
	s_waitcnt lgkmcnt(0)
	v_fma_mix_f32 v14, v21, v72, 0 op_sel_hi:[1,1,0]
	s_nop 0
	v_fma_mix_f32 v14, v33, v72, v14 op_sel:[0,1,0] op_sel_hi:[1,1,0]
	s_nop 0
	v_fma_mix_f32 v14, v34, v73, v14 op_sel_hi:[1,1,0]
	s_nop 0
	v_fma_mix_f32 v14, v35, v73, v14 op_sel:[0,1,0] op_sel_hi:[1,1,0]
	s_nop 0
	v_fma_mix_f32 v14, v36, v74, v14 op_sel_hi:[1,1,0]
	s_nop 0
	v_fma_mix_f32 v14, v37, v74, v14 op_sel:[0,1,0] op_sel_hi:[1,1,0]
	s_nop 0
	v_fma_mix_f32 v14, v38, v75, v14 op_sel_hi:[1,1,0]
	s_nop 0
	v_fma_mix_f32 v14, v39, v75, v14 op_sel:[0,1,0] op_sel_hi:[1,1,0]
	s_nop 0
	v_fma_mixlo_f16 v14, v14, v18, 0 op_sel_hi:[0,1,0]
	v_add_f16_e32 v68, v55, v14
	v_fma_mix_f32 v14, v40, v72, 0 op_sel_hi:[1,1,0]
	s_nop 0
	v_fma_mix_f32 v14, v41, v72, v14 op_sel:[0,1,0] op_sel_hi:[1,1,0]
	s_nop 0
	v_fma_mix_f32 v14, v42, v73, v14 op_sel_hi:[1,1,0]
	s_nop 0
	v_fma_mix_f32 v14, v43, v73, v14 op_sel:[0,1,0] op_sel_hi:[1,1,0]
	s_nop 0
	v_fma_mix_f32 v14, v44, v74, v14 op_sel_hi:[1,1,0]
	s_nop 0
	v_fma_mix_f32 v14, v45, v74, v14 op_sel:[0,1,0] op_sel_hi:[1,1,0]
	s_nop 0
	v_fma_mix_f32 v14, v46, v75, v14 op_sel_hi:[1,1,0]
	s_nop 0
	v_fma_mix_f32 v14, v47, v75, v14 op_sel:[0,1,0] op_sel_hi:[1,1,0]
	s_nop 0
	v_fma_mixlo_f16 v14, v14, v18, 0 op_sel:[0,1,0] op_sel_hi:[0,1,0]
	v_add_f16_sdwa v69, v55, v14 dst_sel:DWORD dst_unused:UNUSED_PAD src0_sel:WORD_1 src1_sel:DWORD
	v_fma_mix_f32 v14, v48, v72, 0 op_sel_hi:[1,1,0]
	s_nop 0
	v_fma_mix_f32 v14, v49, v72, v14 op_sel:[0,1,0] op_sel_hi:[1,1,0]
	s_nop 0
	v_fma_mix_f32 v14, v50, v73, v14 op_sel_hi:[1,1,0]
	s_nop 0
	v_fma_mix_f32 v14, v51, v73, v14 op_sel:[0,1,0] op_sel_hi:[1,1,0]
	s_nop 0
	v_fma_mix_f32 v14, v52, v74, v14 op_sel_hi:[1,1,0]
	s_nop 0
	v_fma_mix_f32 v14, v53, v74, v14 op_sel:[0,1,0] op_sel_hi:[1,1,0]
	s_nop 0
	v_fma_mix_f32 v14, v66, v75, v14 op_sel_hi:[1,1,0]
	s_nop 0
	v_fma_mix_f32 v14, v67, v75, v14 op_sel:[0,1,0] op_sel_hi:[1,1,0]
	s_nop 0
	v_fma_mixlo_f16 v14, v14, v19, 0 op_sel_hi:[0,1,0]
	v_add_f16_e32 v70, v54, v14
	v_fma_mix_f32 v14, v92, v72, 0 op_sel_hi:[1,1,0]
	s_nop 0
	v_fma_mix_f32 v14, v93, v72, v14 op_sel:[0,1,0] op_sel_hi:[1,1,0]
	s_nop 0
	v_fma_mix_f32 v14, v94, v73, v14 op_sel_hi:[1,1,0]
	s_nop 0
	v_fma_mix_f32 v14, v95, v73, v14 op_sel:[0,1,0] op_sel_hi:[1,1,0]
	s_nop 0
	v_fma_mix_f32 v14, v97, v74, v14 op_sel_hi:[1,1,0]
	s_nop 0
	v_fma_mix_f32 v14, v99, v74, v14 op_sel:[0,1,0] op_sel_hi:[1,1,0]
	s_nop 0
	v_fma_mix_f32 v14, v101, v75, v14 op_sel_hi:[1,1,0]
	s_nop 0
	v_fma_mix_f32 v14, v103, v75, v14 op_sel:[0,1,0] op_sel_hi:[1,1,0]
	s_nop 0
	v_fma_mixlo_f16 v14, v14, v19, 0 op_sel:[0,1,0] op_sel_hi:[0,1,0]
	v_add_f16_sdwa v71, v54, v14 dst_sel:DWORD dst_unused:UNUSED_PAD src0_sel:WORD_1 src1_sel:DWORD
	;; [unrolled: 36-line block ×4, first 2 shown]
	ds_read_b128 v[54:57], v27 offset:768
	s_waitcnt lgkmcnt(0)
	v_fma_mix_f32 v14, v21, v54, 0 op_sel_hi:[1,1,0]
	s_nop 0
	v_fma_mix_f32 v14, v33, v54, v14 op_sel:[0,1,0] op_sel_hi:[1,1,0]
	s_nop 0
	v_fma_mix_f32 v14, v34, v55, v14 op_sel_hi:[1,1,0]
	s_nop 0
	v_fma_mix_f32 v14, v35, v55, v14 op_sel:[0,1,0] op_sel_hi:[1,1,0]
	s_nop 0
	;; [unrolled: 4-line block ×4, first 2 shown]
	v_fma_mixlo_f16 v14, v14, v18, 0 op_sel_hi:[0,1,0]
	v_add_f16_e32 v80, v59, v14
	v_fma_mix_f32 v14, v40, v54, 0 op_sel_hi:[1,1,0]
	s_nop 0
	v_fma_mix_f32 v14, v41, v54, v14 op_sel:[0,1,0] op_sel_hi:[1,1,0]
	s_nop 0
	v_fma_mix_f32 v14, v42, v55, v14 op_sel_hi:[1,1,0]
	s_nop 0
	v_fma_mix_f32 v14, v43, v55, v14 op_sel:[0,1,0] op_sel_hi:[1,1,0]
	s_nop 0
	;; [unrolled: 4-line block ×4, first 2 shown]
	v_fma_mixlo_f16 v14, v14, v18, 0 op_sel:[0,1,0] op_sel_hi:[0,1,0]
	v_add_f16_sdwa v81, v59, v14 dst_sel:DWORD dst_unused:UNUSED_PAD src0_sel:WORD_1 src1_sel:DWORD
	v_fma_mix_f32 v14, v48, v54, 0 op_sel_hi:[1,1,0]
	s_nop 0
	v_fma_mix_f32 v14, v49, v54, v14 op_sel:[0,1,0] op_sel_hi:[1,1,0]
	s_nop 0
	v_fma_mix_f32 v14, v50, v55, v14 op_sel_hi:[1,1,0]
	s_nop 0
	v_fma_mix_f32 v14, v51, v55, v14 op_sel:[0,1,0] op_sel_hi:[1,1,0]
	s_nop 0
	;; [unrolled: 4-line block ×4, first 2 shown]
	v_fma_mixlo_f16 v14, v14, v19, 0 op_sel_hi:[0,1,0]
	v_add_f16_e32 v82, v58, v14
	v_fma_mix_f32 v14, v92, v54, 0 op_sel_hi:[1,1,0]
	s_nop 0
	v_fma_mix_f32 v14, v93, v54, v14 op_sel:[0,1,0] op_sel_hi:[1,1,0]
	s_nop 0
	v_fma_mix_f32 v14, v94, v55, v14 op_sel_hi:[1,1,0]
	s_nop 0
	v_fma_mix_f32 v14, v95, v55, v14 op_sel:[0,1,0] op_sel_hi:[1,1,0]
	s_nop 0
	;; [unrolled: 4-line block ×3, first 2 shown]
	v_fma_mix_f32 v14, v101, v57, v14 op_sel_hi:[1,1,0]
	s_nop 0
	v_fma_mix_f32 v14, v103, v57, v14 op_sel:[0,1,0] op_sel_hi:[1,1,0]
	ds_read_b128 v[54:57], v27 offset:1024
	v_fma_mixlo_f16 v14, v14, v19, 0 op_sel:[0,1,0] op_sel_hi:[0,1,0]
	v_add_f16_sdwa v83, v58, v14 dst_sel:DWORD dst_unused:UNUSED_PAD src0_sel:WORD_1 src1_sel:DWORD
	s_waitcnt lgkmcnt(0)
	v_fma_mix_f32 v14, v21, v54, 0 op_sel_hi:[1,1,0]
	s_nop 0
	v_fma_mix_f32 v14, v33, v54, v14 op_sel:[0,1,0] op_sel_hi:[1,1,0]
	s_nop 0
	v_fma_mix_f32 v14, v34, v55, v14 op_sel_hi:[1,1,0]
	s_nop 0
	v_fma_mix_f32 v14, v35, v55, v14 op_sel:[0,1,0] op_sel_hi:[1,1,0]
	s_nop 0
	;; [unrolled: 4-line block ×4, first 2 shown]
	v_fma_mixlo_f16 v14, v14, v18, 0 op_sel_hi:[0,1,0]
	v_add_f16_e32 v88, v61, v14
	v_fma_mix_f32 v14, v40, v54, 0 op_sel_hi:[1,1,0]
	s_nop 0
	v_fma_mix_f32 v14, v41, v54, v14 op_sel:[0,1,0] op_sel_hi:[1,1,0]
	s_nop 0
	v_fma_mix_f32 v14, v42, v55, v14 op_sel_hi:[1,1,0]
	s_nop 0
	v_fma_mix_f32 v14, v43, v55, v14 op_sel:[0,1,0] op_sel_hi:[1,1,0]
	s_nop 0
	;; [unrolled: 4-line block ×4, first 2 shown]
	v_fma_mixlo_f16 v14, v14, v18, 0 op_sel:[0,1,0] op_sel_hi:[0,1,0]
	v_add_f16_sdwa v89, v61, v14 dst_sel:DWORD dst_unused:UNUSED_PAD src0_sel:WORD_1 src1_sel:DWORD
	v_fma_mix_f32 v14, v48, v54, 0 op_sel_hi:[1,1,0]
	s_nop 0
	v_fma_mix_f32 v14, v49, v54, v14 op_sel:[0,1,0] op_sel_hi:[1,1,0]
	s_nop 0
	v_fma_mix_f32 v14, v50, v55, v14 op_sel_hi:[1,1,0]
	s_nop 0
	v_fma_mix_f32 v14, v51, v55, v14 op_sel:[0,1,0] op_sel_hi:[1,1,0]
	s_nop 0
	;; [unrolled: 4-line block ×4, first 2 shown]
	v_fma_mixlo_f16 v14, v14, v19, 0 op_sel_hi:[0,1,0]
	v_add_f16_e32 v90, v60, v14
	v_fma_mix_f32 v14, v92, v54, 0 op_sel_hi:[1,1,0]
	s_nop 0
	v_fma_mix_f32 v14, v93, v54, v14 op_sel:[0,1,0] op_sel_hi:[1,1,0]
	s_nop 0
	v_fma_mix_f32 v14, v94, v55, v14 op_sel_hi:[1,1,0]
	s_nop 0
	v_fma_mix_f32 v14, v95, v55, v14 op_sel:[0,1,0] op_sel_hi:[1,1,0]
	s_nop 0
	;; [unrolled: 4-line block ×3, first 2 shown]
	v_fma_mix_f32 v14, v101, v57, v14 op_sel_hi:[1,1,0]
	s_nop 0
	v_fma_mix_f32 v14, v103, v57, v14 op_sel:[0,1,0] op_sel_hi:[1,1,0]
	ds_read_b128 v[54:57], v27 offset:1280
	v_fma_mixlo_f16 v14, v14, v19, 0 op_sel:[0,1,0] op_sel_hi:[0,1,0]
	v_add_f16_sdwa v91, v60, v14 dst_sel:DWORD dst_unused:UNUSED_PAD src0_sel:WORD_1 src1_sel:DWORD
	s_waitcnt lgkmcnt(0)
	v_fma_mix_f32 v14, v21, v54, 0 op_sel_hi:[1,1,0]
	s_nop 0
	v_fma_mix_f32 v14, v33, v54, v14 op_sel:[0,1,0] op_sel_hi:[1,1,0]
	s_nop 0
	v_fma_mix_f32 v14, v34, v55, v14 op_sel_hi:[1,1,0]
	s_nop 0
	v_fma_mix_f32 v14, v35, v55, v14 op_sel:[0,1,0] op_sel_hi:[1,1,0]
	s_nop 0
	v_fma_mix_f32 v14, v36, v56, v14 op_sel_hi:[1,1,0]
	s_nop 0
	v_fma_mix_f32 v14, v37, v56, v14 op_sel:[0,1,0] op_sel_hi:[1,1,0]
	s_nop 0
	v_fma_mix_f32 v14, v38, v57, v14 op_sel_hi:[1,1,0]
	s_nop 0
	v_fma_mix_f32 v14, v39, v57, v14 op_sel:[0,1,0] op_sel_hi:[1,1,0]
	s_nop 0
	v_fma_mixlo_f16 v14, v14, v18, 0 op_sel_hi:[0,1,0]
	v_add_f16_e32 v84, v63, v14
	v_fma_mix_f32 v14, v40, v54, 0 op_sel_hi:[1,1,0]
	s_nop 0
	v_fma_mix_f32 v14, v41, v54, v14 op_sel:[0,1,0] op_sel_hi:[1,1,0]
	s_nop 0
	v_fma_mix_f32 v14, v42, v55, v14 op_sel_hi:[1,1,0]
	s_nop 0
	v_fma_mix_f32 v14, v43, v55, v14 op_sel:[0,1,0] op_sel_hi:[1,1,0]
	s_nop 0
	;; [unrolled: 4-line block ×4, first 2 shown]
	v_fma_mixlo_f16 v14, v14, v18, 0 op_sel:[0,1,0] op_sel_hi:[0,1,0]
	v_add_f16_sdwa v85, v63, v14 dst_sel:DWORD dst_unused:UNUSED_PAD src0_sel:WORD_1 src1_sel:DWORD
	v_fma_mix_f32 v14, v48, v54, 0 op_sel_hi:[1,1,0]
	s_nop 0
	v_fma_mix_f32 v14, v49, v54, v14 op_sel:[0,1,0] op_sel_hi:[1,1,0]
	s_nop 0
	v_fma_mix_f32 v14, v50, v55, v14 op_sel_hi:[1,1,0]
	s_nop 0
	v_fma_mix_f32 v14, v51, v55, v14 op_sel:[0,1,0] op_sel_hi:[1,1,0]
	s_nop 0
	;; [unrolled: 4-line block ×4, first 2 shown]
	v_fma_mixlo_f16 v14, v14, v19, 0 op_sel_hi:[0,1,0]
	v_add_f16_e32 v86, v62, v14
	v_fma_mix_f32 v14, v92, v54, 0 op_sel_hi:[1,1,0]
	s_nop 0
	v_fma_mix_f32 v14, v93, v54, v14 op_sel:[0,1,0] op_sel_hi:[1,1,0]
	s_nop 0
	v_fma_mix_f32 v14, v94, v55, v14 op_sel_hi:[1,1,0]
	s_nop 0
	v_fma_mix_f32 v14, v95, v55, v14 op_sel:[0,1,0] op_sel_hi:[1,1,0]
	s_nop 0
	;; [unrolled: 4-line block ×3, first 2 shown]
	v_fma_mix_f32 v14, v101, v57, v14 op_sel_hi:[1,1,0]
	s_nop 0
	v_fma_mix_f32 v14, v103, v57, v14 op_sel:[0,1,0] op_sel_hi:[1,1,0]
	ds_read_b128 v[54:57], v27 offset:1536
	v_fma_mixlo_f16 v14, v14, v19, 0 op_sel:[0,1,0] op_sel_hi:[0,1,0]
	v_add_f16_sdwa v87, v62, v14 dst_sel:DWORD dst_unused:UNUSED_PAD src0_sel:WORD_1 src1_sel:DWORD
	s_waitcnt lgkmcnt(0)
	v_fma_mix_f32 v14, v21, v54, 0 op_sel_hi:[1,1,0]
	s_nop 0
	v_fma_mix_f32 v14, v33, v54, v14 op_sel:[0,1,0] op_sel_hi:[1,1,0]
	s_nop 0
	v_fma_mix_f32 v14, v34, v55, v14 op_sel_hi:[1,1,0]
	s_nop 0
	v_fma_mix_f32 v14, v35, v55, v14 op_sel:[0,1,0] op_sel_hi:[1,1,0]
	s_nop 0
	;; [unrolled: 4-line block ×4, first 2 shown]
	v_fma_mixlo_f16 v14, v14, v18, 0 op_sel_hi:[0,1,0]
	v_add_f16_e32 v76, v65, v14
	v_fma_mix_f32 v14, v40, v54, 0 op_sel_hi:[1,1,0]
	s_nop 0
	v_fma_mix_f32 v14, v41, v54, v14 op_sel:[0,1,0] op_sel_hi:[1,1,0]
	s_nop 0
	v_fma_mix_f32 v14, v42, v55, v14 op_sel_hi:[1,1,0]
	s_nop 0
	v_fma_mix_f32 v14, v43, v55, v14 op_sel:[0,1,0] op_sel_hi:[1,1,0]
	s_nop 0
	;; [unrolled: 4-line block ×4, first 2 shown]
	v_fma_mixlo_f16 v14, v14, v18, 0 op_sel:[0,1,0] op_sel_hi:[0,1,0]
	v_add_f16_sdwa v77, v65, v14 dst_sel:DWORD dst_unused:UNUSED_PAD src0_sel:WORD_1 src1_sel:DWORD
	v_fma_mix_f32 v14, v48, v54, 0 op_sel_hi:[1,1,0]
	s_nop 0
	v_fma_mix_f32 v14, v49, v54, v14 op_sel:[0,1,0] op_sel_hi:[1,1,0]
	s_nop 0
	v_fma_mix_f32 v14, v50, v55, v14 op_sel_hi:[1,1,0]
	s_nop 0
	v_fma_mix_f32 v14, v51, v55, v14 op_sel:[0,1,0] op_sel_hi:[1,1,0]
	s_nop 0
	;; [unrolled: 4-line block ×4, first 2 shown]
	v_fma_mixlo_f16 v14, v14, v19, 0 op_sel_hi:[0,1,0]
	v_add_f16_e32 v78, v64, v14
	v_fma_mix_f32 v14, v92, v54, 0 op_sel_hi:[1,1,0]
	s_nop 0
	v_fma_mix_f32 v14, v93, v54, v14 op_sel:[0,1,0] op_sel_hi:[1,1,0]
	s_nop 0
	v_fma_mix_f32 v14, v94, v55, v14 op_sel_hi:[1,1,0]
	s_nop 0
	v_fma_mix_f32 v14, v95, v55, v14 op_sel:[0,1,0] op_sel_hi:[1,1,0]
	s_nop 0
	v_fma_mix_f32 v14, v97, v56, v14 op_sel_hi:[1,1,0]
	s_nop 0
	v_fma_mix_f32 v14, v99, v56, v14 op_sel:[0,1,0] op_sel_hi:[1,1,0]
	s_nop 0
	v_fma_mix_f32 v14, v101, v57, v14 op_sel_hi:[1,1,0]
	s_nop 0
	v_fma_mix_f32 v14, v103, v57, v14 op_sel:[0,1,0] op_sel_hi:[1,1,0]
	ds_read_b128 v[54:57], v27 offset:1792
	v_fma_mixlo_f16 v14, v14, v19, 0 op_sel:[0,1,0] op_sel_hi:[0,1,0]
	v_add_f16_sdwa v79, v64, v14 dst_sel:DWORD dst_unused:UNUSED_PAD src0_sel:WORD_1 src1_sel:DWORD
	s_waitcnt lgkmcnt(0)
	v_fma_mix_f32 v14, v21, v54, 0 op_sel_hi:[1,1,0]
	s_nop 0
	v_fma_mix_f32 v14, v33, v54, v14 op_sel:[0,1,0] op_sel_hi:[1,1,0]
	s_nop 0
	v_fma_mix_f32 v14, v34, v55, v14 op_sel_hi:[1,1,0]
	s_nop 0
	v_fma_mix_f32 v14, v35, v55, v14 op_sel:[0,1,0] op_sel_hi:[1,1,0]
	s_nop 0
	v_fma_mix_f32 v14, v36, v56, v14 op_sel_hi:[1,1,0]
	s_nop 0
	v_fma_mix_f32 v14, v37, v56, v14 op_sel:[0,1,0] op_sel_hi:[1,1,0]
	s_nop 0
	v_fma_mix_f32 v14, v38, v57, v14 op_sel_hi:[1,1,0]
	s_nop 0
	v_fma_mix_f32 v14, v39, v57, v14 op_sel:[0,1,0] op_sel_hi:[1,1,0]
	s_nop 0
	v_fma_mixlo_f16 v14, v14, v18, 0 op_sel_hi:[0,1,0]
	v_add_f16_e32 v21, v20, v14
	v_fma_mix_f32 v14, v40, v54, 0 op_sel_hi:[1,1,0]
	s_nop 0
	v_fma_mix_f32 v14, v41, v54, v14 op_sel:[0,1,0] op_sel_hi:[1,1,0]
	s_nop 0
	v_fma_mix_f32 v14, v42, v55, v14 op_sel_hi:[1,1,0]
	s_nop 0
	v_fma_mix_f32 v14, v43, v55, v14 op_sel:[0,1,0] op_sel_hi:[1,1,0]
	s_nop 0
	;; [unrolled: 4-line block ×4, first 2 shown]
	v_fma_mixlo_f16 v14, v14, v18, 0 op_sel:[0,1,0] op_sel_hi:[0,1,0]
	v_add_f16_sdwa v20, v20, v14 dst_sel:DWORD dst_unused:UNUSED_PAD src0_sel:WORD_1 src1_sel:DWORD
	v_fma_mix_f32 v14, v48, v54, 0 op_sel_hi:[1,1,0]
	s_nop 0
	v_fma_mix_f32 v14, v49, v54, v14 op_sel:[0,1,0] op_sel_hi:[1,1,0]
	s_nop 0
	v_fma_mix_f32 v14, v50, v55, v14 op_sel_hi:[1,1,0]
	s_nop 0
	v_fma_mix_f32 v14, v51, v55, v14 op_sel:[0,1,0] op_sel_hi:[1,1,0]
	s_nop 0
	;; [unrolled: 4-line block ×4, first 2 shown]
	v_fma_mixlo_f16 v14, v14, v19, 0 op_sel_hi:[0,1,0]
	v_add_f16_e32 v15, v32, v14
	v_fma_mix_f32 v14, v92, v54, 0 op_sel_hi:[1,1,0]
	s_nop 0
	v_fma_mix_f32 v14, v93, v54, v14 op_sel:[0,1,0] op_sel_hi:[1,1,0]
	s_nop 0
	v_fma_mix_f32 v14, v94, v55, v14 op_sel_hi:[1,1,0]
	s_nop 0
	v_fma_mix_f32 v14, v95, v55, v14 op_sel:[0,1,0] op_sel_hi:[1,1,0]
	s_nop 0
	;; [unrolled: 4-line block ×4, first 2 shown]
	v_fma_mixlo_f16 v14, v14, v19, 0 op_sel:[0,1,0] op_sel_hi:[0,1,0]
	v_add_f16_sdwa v14, v32, v14 dst_sel:DWORD dst_unused:UNUSED_PAD src0_sel:WORD_1 src1_sel:DWORD
	global_load_dwordx4 v[32:35], v[12:13], off
	v_lshl_add_u64 v[12:13], v[12:13], 0, s[0:1]
	global_load_dwordx4 v[64:67], v[12:13], off
	s_waitcnt vmcnt(1)
	v_sub_u32_sdwa v36, v32, v31 dst_sel:DWORD dst_unused:UNUSED_PAD src0_sel:BYTE_0 src1_sel:DWORD
	v_sub_u32_sdwa v37, v32, v31 dst_sel:DWORD dst_unused:UNUSED_PAD src0_sel:BYTE_1 src1_sel:DWORD
	v_sub_u32_sdwa v38, v32, v31 dst_sel:DWORD dst_unused:UNUSED_PAD src0_sel:BYTE_2 src1_sel:DWORD
	v_sub_u32_sdwa v32, v32, v31 dst_sel:DWORD dst_unused:UNUSED_PAD src0_sel:BYTE_3 src1_sel:DWORD
	v_cvt_f32_i32_e32 v32, v32
	v_cvt_f32_i32_e32 v36, v36
	;; [unrolled: 1-line block ×4, first 2 shown]
	v_cvt_f16_f32_e32 v39, v32
	s_waitcnt vmcnt(0)
	v_sub_u32_sdwa v32, v64, v31 dst_sel:DWORD dst_unused:UNUSED_PAD src0_sel:BYTE_0 src1_sel:DWORD
	v_cvt_f32_i32_e32 v32, v32
	v_cvt_f16_f32_e32 v36, v36
	v_cvt_f16_f32_e32 v37, v37
	;; [unrolled: 1-line block ×4, first 2 shown]
	v_sub_u32_sdwa v32, v64, v31 dst_sel:DWORD dst_unused:UNUSED_PAD src0_sel:BYTE_1 src1_sel:DWORD
	v_cvt_f32_i32_e32 v32, v32
	v_cvt_f16_f32_e32 v42, v32
	v_sub_u32_sdwa v32, v64, v31 dst_sel:DWORD dst_unused:UNUSED_PAD src0_sel:BYTE_2 src1_sel:DWORD
	v_cvt_f32_i32_e32 v32, v32
	v_cvt_f16_f32_e32 v44, v32
	v_sub_u32_sdwa v32, v64, v31 dst_sel:DWORD dst_unused:UNUSED_PAD src0_sel:BYTE_3 src1_sel:DWORD
	v_cvt_f32_i32_e32 v32, v32
	v_cvt_f16_f32_e32 v46, v32
	v_sub_u32_sdwa v32, v33, v30 dst_sel:DWORD dst_unused:UNUSED_PAD src0_sel:BYTE_0 src1_sel:DWORD
	v_cvt_f32_i32_e32 v32, v32
	v_cvt_f16_f32_e32 v41, v32
	v_sub_u32_sdwa v32, v33, v30 dst_sel:DWORD dst_unused:UNUSED_PAD src0_sel:BYTE_1 src1_sel:DWORD
	v_cvt_f32_i32_e32 v32, v32
	v_cvt_f16_f32_e32 v43, v32
	v_sub_u32_sdwa v32, v33, v30 dst_sel:DWORD dst_unused:UNUSED_PAD src0_sel:BYTE_2 src1_sel:DWORD
	v_cvt_f32_i32_e32 v32, v32
	v_cvt_f16_f32_e32 v45, v32
	v_sub_u32_sdwa v32, v33, v30 dst_sel:DWORD dst_unused:UNUSED_PAD src0_sel:BYTE_3 src1_sel:DWORD
	v_cvt_f32_i32_e32 v32, v32
	v_cvt_f16_f32_e32 v47, v32
	v_sub_u32_sdwa v32, v65, v30 dst_sel:DWORD dst_unused:UNUSED_PAD src0_sel:BYTE_0 src1_sel:DWORD
	v_cvt_f32_i32_e32 v32, v32
	v_cvt_f16_f32_e32 v48, v32
	;; [unrolled: 12-line block ×6, first 2 shown]
	v_sub_u32_sdwa v32, v67, v28 dst_sel:DWORD dst_unused:UNUSED_PAD src0_sel:BYTE_1 src1_sel:DWORD
	v_cvt_f32_i32_e32 v32, v32
	v_cvt_f16_f32_e32 v65, v32
	v_sub_u32_sdwa v32, v67, v28 dst_sel:DWORD dst_unused:UNUSED_PAD src0_sel:BYTE_2 src1_sel:DWORD
	v_cvt_f32_i32_e32 v32, v32
	v_cvt_f16_f32_e32 v66, v32
	v_sub_u32_sdwa v32, v67, v28 dst_sel:DWORD dst_unused:UNUSED_PAD src0_sel:BYTE_3 src1_sel:DWORD
	v_cvt_f32_i32_e32 v32, v32
	v_cvt_f16_f32_e32 v67, v32
	v_fma_mix_f32 v32, v36, v8, 0 op_sel_hi:[1,1,0]
	s_nop 0
	v_fma_mix_f32 v32, v37, v8, v32 op_sel:[0,1,0] op_sel_hi:[1,1,0]
	s_nop 0
	v_fma_mix_f32 v32, v38, v9, v32 op_sel_hi:[1,1,0]
	s_nop 0
	v_fma_mix_f32 v32, v39, v9, v32 op_sel:[0,1,0] op_sel_hi:[1,1,0]
	s_nop 0
	;; [unrolled: 4-line block ×4, first 2 shown]
	v_fma_mixlo_f16 v32, v32, v18, 0 op_sel_hi:[0,1,0]
	v_add_f16_e32 v35, v96, v32
	v_fma_mix_f32 v32, v41, v8, 0 op_sel_hi:[1,1,0]
	s_nop 0
	v_fma_mix_f32 v32, v43, v8, v32 op_sel:[0,1,0] op_sel_hi:[1,1,0]
	s_nop 0
	v_fma_mix_f32 v32, v45, v9, v32 op_sel_hi:[1,1,0]
	s_nop 0
	v_fma_mix_f32 v32, v47, v9, v32 op_sel:[0,1,0] op_sel_hi:[1,1,0]
	s_nop 0
	;; [unrolled: 4-line block ×4, first 2 shown]
	v_fma_mixlo_f16 v32, v32, v18, 0 op_sel:[0,1,0] op_sel_hi:[0,1,0]
	v_add_f16_e32 v34, v98, v32
	v_fma_mix_f32 v32, v49, v8, 0 op_sel_hi:[1,1,0]
	s_nop 0
	v_fma_mix_f32 v32, v51, v8, v32 op_sel:[0,1,0] op_sel_hi:[1,1,0]
	s_nop 0
	v_fma_mix_f32 v32, v53, v9, v32 op_sel_hi:[1,1,0]
	s_nop 0
	v_fma_mix_f32 v32, v55, v9, v32 op_sel:[0,1,0] op_sel_hi:[1,1,0]
	s_nop 0
	;; [unrolled: 4-line block ×4, first 2 shown]
	v_fma_mixlo_f16 v32, v32, v19, 0 op_sel_hi:[0,1,0]
	v_add_f16_e32 v33, v100, v32
	v_fma_mix_f32 v32, v57, v8, 0 op_sel_hi:[1,1,0]
	s_nop 0
	v_fma_mix_f32 v8, v59, v8, v32 op_sel:[0,1,0] op_sel_hi:[1,1,0]
	s_nop 0
	v_fma_mix_f32 v8, v61, v9, v8 op_sel_hi:[1,1,0]
	s_nop 0
	v_fma_mix_f32 v8, v63, v9, v8 op_sel:[0,1,0] op_sel_hi:[1,1,0]
	s_nop 0
	;; [unrolled: 4-line block ×4, first 2 shown]
	v_fma_mixlo_f16 v8, v8, v19, 0 op_sel:[0,1,0] op_sel_hi:[0,1,0]
	v_add_f16_e32 v32, v102, v8
	ds_read_b128 v[8:11], v27 offset:272
	s_waitcnt lgkmcnt(0)
	v_fma_mix_f32 v92, v36, v8, 0 op_sel_hi:[1,1,0]
	s_nop 0
	v_fma_mix_f32 v92, v37, v8, v92 op_sel:[0,1,0] op_sel_hi:[1,1,0]
	s_nop 0
	v_fma_mix_f32 v92, v38, v9, v92 op_sel_hi:[1,1,0]
	s_nop 0
	v_fma_mix_f32 v92, v39, v9, v92 op_sel:[0,1,0] op_sel_hi:[1,1,0]
	s_nop 0
	v_fma_mix_f32 v92, v40, v10, v92 op_sel_hi:[1,1,0]
	s_nop 0
	v_fma_mix_f32 v92, v42, v10, v92 op_sel:[0,1,0] op_sel_hi:[1,1,0]
	s_nop 0
	v_fma_mix_f32 v92, v44, v11, v92 op_sel_hi:[1,1,0]
	s_nop 0
	v_fma_mix_f32 v92, v46, v11, v92 op_sel:[0,1,0] op_sel_hi:[1,1,0]
	s_nop 0
	v_fma_mixlo_f16 v92, v92, v18, 0 op_sel_hi:[0,1,0]
	v_add_f16_e32 v68, v68, v92
	v_fma_mix_f32 v92, v41, v8, 0 op_sel_hi:[1,1,0]
	s_nop 0
	v_fma_mix_f32 v92, v43, v8, v92 op_sel:[0,1,0] op_sel_hi:[1,1,0]
	s_nop 0
	v_fma_mix_f32 v92, v45, v9, v92 op_sel_hi:[1,1,0]
	s_nop 0
	v_fma_mix_f32 v92, v47, v9, v92 op_sel:[0,1,0] op_sel_hi:[1,1,0]
	s_nop 0
	;; [unrolled: 4-line block ×4, first 2 shown]
	v_fma_mixlo_f16 v92, v92, v18, 0 op_sel:[0,1,0] op_sel_hi:[0,1,0]
	v_add_f16_e32 v69, v69, v92
	v_fma_mix_f32 v92, v49, v8, 0 op_sel_hi:[1,1,0]
	s_nop 0
	v_fma_mix_f32 v92, v51, v8, v92 op_sel:[0,1,0] op_sel_hi:[1,1,0]
	s_nop 0
	v_fma_mix_f32 v92, v53, v9, v92 op_sel_hi:[1,1,0]
	s_nop 0
	v_fma_mix_f32 v92, v55, v9, v92 op_sel:[0,1,0] op_sel_hi:[1,1,0]
	s_nop 0
	;; [unrolled: 4-line block ×4, first 2 shown]
	v_fma_mixlo_f16 v92, v92, v19, 0 op_sel_hi:[0,1,0]
	v_add_f16_e32 v70, v70, v92
	v_fma_mix_f32 v92, v57, v8, 0 op_sel_hi:[1,1,0]
	s_nop 0
	v_fma_mix_f32 v8, v59, v8, v92 op_sel:[0,1,0] op_sel_hi:[1,1,0]
	s_nop 0
	v_fma_mix_f32 v8, v61, v9, v8 op_sel_hi:[1,1,0]
	s_nop 0
	v_fma_mix_f32 v8, v63, v9, v8 op_sel:[0,1,0] op_sel_hi:[1,1,0]
	s_nop 0
	;; [unrolled: 4-line block ×4, first 2 shown]
	v_fma_mixlo_f16 v8, v8, v19, 0 op_sel:[0,1,0] op_sel_hi:[0,1,0]
	v_add_f16_e32 v71, v71, v8
	ds_read_b128 v[8:11], v27 offset:528
	s_waitcnt lgkmcnt(0)
	v_fma_mix_f32 v92, v36, v8, 0 op_sel_hi:[1,1,0]
	s_nop 0
	v_fma_mix_f32 v92, v37, v8, v92 op_sel:[0,1,0] op_sel_hi:[1,1,0]
	s_nop 0
	v_fma_mix_f32 v92, v38, v9, v92 op_sel_hi:[1,1,0]
	s_nop 0
	v_fma_mix_f32 v92, v39, v9, v92 op_sel:[0,1,0] op_sel_hi:[1,1,0]
	s_nop 0
	;; [unrolled: 4-line block ×4, first 2 shown]
	v_fma_mixlo_f16 v92, v92, v18, 0 op_sel_hi:[0,1,0]
	v_add_f16_e32 v72, v72, v92
	v_fma_mix_f32 v92, v41, v8, 0 op_sel_hi:[1,1,0]
	s_nop 0
	v_fma_mix_f32 v92, v43, v8, v92 op_sel:[0,1,0] op_sel_hi:[1,1,0]
	s_nop 0
	v_fma_mix_f32 v92, v45, v9, v92 op_sel_hi:[1,1,0]
	s_nop 0
	v_fma_mix_f32 v92, v47, v9, v92 op_sel:[0,1,0] op_sel_hi:[1,1,0]
	s_nop 0
	v_fma_mix_f32 v92, v48, v10, v92 op_sel_hi:[1,1,0]
	s_nop 0
	v_fma_mix_f32 v92, v50, v10, v92 op_sel:[0,1,0] op_sel_hi:[1,1,0]
	s_nop 0
	v_fma_mix_f32 v92, v52, v11, v92 op_sel_hi:[1,1,0]
	s_nop 0
	v_fma_mix_f32 v92, v54, v11, v92 op_sel:[0,1,0] op_sel_hi:[1,1,0]
	s_nop 0
	v_fma_mixlo_f16 v92, v92, v18, 0 op_sel:[0,1,0] op_sel_hi:[0,1,0]
	v_add_f16_e32 v73, v73, v92
	v_fma_mix_f32 v92, v49, v8, 0 op_sel_hi:[1,1,0]
	s_nop 0
	v_fma_mix_f32 v92, v51, v8, v92 op_sel:[0,1,0] op_sel_hi:[1,1,0]
	s_nop 0
	v_fma_mix_f32 v92, v53, v9, v92 op_sel_hi:[1,1,0]
	s_nop 0
	v_fma_mix_f32 v92, v55, v9, v92 op_sel:[0,1,0] op_sel_hi:[1,1,0]
	s_nop 0
	;; [unrolled: 4-line block ×4, first 2 shown]
	v_fma_mixlo_f16 v92, v92, v19, 0 op_sel_hi:[0,1,0]
	v_add_f16_e32 v74, v74, v92
	v_fma_mix_f32 v92, v57, v8, 0 op_sel_hi:[1,1,0]
	s_nop 0
	v_fma_mix_f32 v8, v59, v8, v92 op_sel:[0,1,0] op_sel_hi:[1,1,0]
	s_nop 0
	v_fma_mix_f32 v8, v61, v9, v8 op_sel_hi:[1,1,0]
	s_nop 0
	v_fma_mix_f32 v8, v63, v9, v8 op_sel:[0,1,0] op_sel_hi:[1,1,0]
	s_nop 0
	;; [unrolled: 4-line block ×4, first 2 shown]
	v_fma_mixlo_f16 v8, v8, v19, 0 op_sel:[0,1,0] op_sel_hi:[0,1,0]
	v_add_f16_e32 v75, v75, v8
	ds_read_b128 v[8:11], v27 offset:784
	s_waitcnt lgkmcnt(0)
	v_fma_mix_f32 v92, v36, v8, 0 op_sel_hi:[1,1,0]
	s_nop 0
	v_fma_mix_f32 v92, v37, v8, v92 op_sel:[0,1,0] op_sel_hi:[1,1,0]
	s_nop 0
	v_fma_mix_f32 v92, v38, v9, v92 op_sel_hi:[1,1,0]
	s_nop 0
	v_fma_mix_f32 v92, v39, v9, v92 op_sel:[0,1,0] op_sel_hi:[1,1,0]
	s_nop 0
	;; [unrolled: 4-line block ×4, first 2 shown]
	v_fma_mixlo_f16 v92, v92, v18, 0 op_sel_hi:[0,1,0]
	v_add_f16_e32 v80, v80, v92
	v_fma_mix_f32 v92, v41, v8, 0 op_sel_hi:[1,1,0]
	s_nop 0
	v_fma_mix_f32 v92, v43, v8, v92 op_sel:[0,1,0] op_sel_hi:[1,1,0]
	s_nop 0
	v_fma_mix_f32 v92, v45, v9, v92 op_sel_hi:[1,1,0]
	s_nop 0
	v_fma_mix_f32 v92, v47, v9, v92 op_sel:[0,1,0] op_sel_hi:[1,1,0]
	s_nop 0
	;; [unrolled: 4-line block ×4, first 2 shown]
	v_fma_mixlo_f16 v92, v92, v18, 0 op_sel:[0,1,0] op_sel_hi:[0,1,0]
	v_add_f16_e32 v81, v81, v92
	v_fma_mix_f32 v92, v49, v8, 0 op_sel_hi:[1,1,0]
	s_nop 0
	v_fma_mix_f32 v92, v51, v8, v92 op_sel:[0,1,0] op_sel_hi:[1,1,0]
	s_nop 0
	v_fma_mix_f32 v92, v53, v9, v92 op_sel_hi:[1,1,0]
	s_nop 0
	v_fma_mix_f32 v92, v55, v9, v92 op_sel:[0,1,0] op_sel_hi:[1,1,0]
	s_nop 0
	;; [unrolled: 4-line block ×4, first 2 shown]
	v_fma_mixlo_f16 v92, v92, v19, 0 op_sel_hi:[0,1,0]
	v_add_f16_e32 v82, v82, v92
	v_fma_mix_f32 v92, v57, v8, 0 op_sel_hi:[1,1,0]
	s_nop 0
	v_fma_mix_f32 v8, v59, v8, v92 op_sel:[0,1,0] op_sel_hi:[1,1,0]
	s_nop 0
	v_fma_mix_f32 v8, v61, v9, v8 op_sel_hi:[1,1,0]
	s_nop 0
	v_fma_mix_f32 v8, v63, v9, v8 op_sel:[0,1,0] op_sel_hi:[1,1,0]
	s_nop 0
	;; [unrolled: 4-line block ×4, first 2 shown]
	v_fma_mixlo_f16 v8, v8, v19, 0 op_sel:[0,1,0] op_sel_hi:[0,1,0]
	v_add_f16_e32 v83, v83, v8
	ds_read_b128 v[8:11], v27 offset:1040
	s_waitcnt lgkmcnt(0)
	v_fma_mix_f32 v92, v36, v8, 0 op_sel_hi:[1,1,0]
	s_nop 0
	v_fma_mix_f32 v92, v37, v8, v92 op_sel:[0,1,0] op_sel_hi:[1,1,0]
	s_nop 0
	v_fma_mix_f32 v92, v38, v9, v92 op_sel_hi:[1,1,0]
	s_nop 0
	v_fma_mix_f32 v92, v39, v9, v92 op_sel:[0,1,0] op_sel_hi:[1,1,0]
	s_nop 0
	;; [unrolled: 4-line block ×4, first 2 shown]
	v_fma_mixlo_f16 v92, v92, v18, 0 op_sel_hi:[0,1,0]
	v_add_f16_e32 v88, v88, v92
	v_fma_mix_f32 v92, v41, v8, 0 op_sel_hi:[1,1,0]
	s_nop 0
	v_fma_mix_f32 v92, v43, v8, v92 op_sel:[0,1,0] op_sel_hi:[1,1,0]
	s_nop 0
	v_fma_mix_f32 v92, v45, v9, v92 op_sel_hi:[1,1,0]
	s_nop 0
	v_fma_mix_f32 v92, v47, v9, v92 op_sel:[0,1,0] op_sel_hi:[1,1,0]
	s_nop 0
	;; [unrolled: 4-line block ×4, first 2 shown]
	v_fma_mixlo_f16 v92, v92, v18, 0 op_sel:[0,1,0] op_sel_hi:[0,1,0]
	v_add_f16_e32 v89, v89, v92
	v_fma_mix_f32 v92, v49, v8, 0 op_sel_hi:[1,1,0]
	s_nop 0
	v_fma_mix_f32 v92, v51, v8, v92 op_sel:[0,1,0] op_sel_hi:[1,1,0]
	s_nop 0
	v_fma_mix_f32 v92, v53, v9, v92 op_sel_hi:[1,1,0]
	s_nop 0
	v_fma_mix_f32 v92, v55, v9, v92 op_sel:[0,1,0] op_sel_hi:[1,1,0]
	s_nop 0
	;; [unrolled: 4-line block ×4, first 2 shown]
	v_fma_mixlo_f16 v92, v92, v19, 0 op_sel_hi:[0,1,0]
	v_add_f16_e32 v90, v90, v92
	v_fma_mix_f32 v92, v57, v8, 0 op_sel_hi:[1,1,0]
	s_nop 0
	v_fma_mix_f32 v8, v59, v8, v92 op_sel:[0,1,0] op_sel_hi:[1,1,0]
	s_nop 0
	v_fma_mix_f32 v8, v61, v9, v8 op_sel_hi:[1,1,0]
	s_nop 0
	v_fma_mix_f32 v8, v63, v9, v8 op_sel:[0,1,0] op_sel_hi:[1,1,0]
	s_nop 0
	;; [unrolled: 4-line block ×4, first 2 shown]
	v_fma_mixlo_f16 v8, v8, v19, 0 op_sel:[0,1,0] op_sel_hi:[0,1,0]
	v_add_f16_e32 v91, v91, v8
	ds_read_b128 v[8:11], v27 offset:1296
	s_waitcnt lgkmcnt(0)
	v_fma_mix_f32 v92, v36, v8, 0 op_sel_hi:[1,1,0]
	s_nop 0
	v_fma_mix_f32 v92, v37, v8, v92 op_sel:[0,1,0] op_sel_hi:[1,1,0]
	s_nop 0
	v_fma_mix_f32 v92, v38, v9, v92 op_sel_hi:[1,1,0]
	s_nop 0
	v_fma_mix_f32 v92, v39, v9, v92 op_sel:[0,1,0] op_sel_hi:[1,1,0]
	s_nop 0
	;; [unrolled: 4-line block ×4, first 2 shown]
	v_fma_mixlo_f16 v92, v92, v18, 0 op_sel_hi:[0,1,0]
	v_add_f16_e32 v84, v84, v92
	v_fma_mix_f32 v92, v41, v8, 0 op_sel_hi:[1,1,0]
	s_nop 0
	v_fma_mix_f32 v92, v43, v8, v92 op_sel:[0,1,0] op_sel_hi:[1,1,0]
	s_nop 0
	v_fma_mix_f32 v92, v45, v9, v92 op_sel_hi:[1,1,0]
	s_nop 0
	v_fma_mix_f32 v92, v47, v9, v92 op_sel:[0,1,0] op_sel_hi:[1,1,0]
	s_nop 0
	;; [unrolled: 4-line block ×4, first 2 shown]
	v_fma_mixlo_f16 v92, v92, v18, 0 op_sel:[0,1,0] op_sel_hi:[0,1,0]
	v_add_f16_e32 v85, v85, v92
	v_fma_mix_f32 v92, v49, v8, 0 op_sel_hi:[1,1,0]
	s_nop 0
	v_fma_mix_f32 v92, v51, v8, v92 op_sel:[0,1,0] op_sel_hi:[1,1,0]
	s_nop 0
	v_fma_mix_f32 v92, v53, v9, v92 op_sel_hi:[1,1,0]
	s_nop 0
	v_fma_mix_f32 v92, v55, v9, v92 op_sel:[0,1,0] op_sel_hi:[1,1,0]
	s_nop 0
	;; [unrolled: 4-line block ×4, first 2 shown]
	v_fma_mixlo_f16 v92, v92, v19, 0 op_sel_hi:[0,1,0]
	v_add_f16_e32 v86, v86, v92
	v_fma_mix_f32 v92, v57, v8, 0 op_sel_hi:[1,1,0]
	s_nop 0
	v_fma_mix_f32 v8, v59, v8, v92 op_sel:[0,1,0] op_sel_hi:[1,1,0]
	s_nop 0
	v_fma_mix_f32 v8, v61, v9, v8 op_sel_hi:[1,1,0]
	s_nop 0
	v_fma_mix_f32 v8, v63, v9, v8 op_sel:[0,1,0] op_sel_hi:[1,1,0]
	s_nop 0
	;; [unrolled: 4-line block ×4, first 2 shown]
	v_fma_mixlo_f16 v8, v8, v19, 0 op_sel:[0,1,0] op_sel_hi:[0,1,0]
	v_add_f16_e32 v87, v87, v8
	ds_read_b128 v[8:11], v27 offset:1552
	s_waitcnt lgkmcnt(0)
	v_fma_mix_f32 v92, v36, v8, 0 op_sel_hi:[1,1,0]
	s_nop 0
	v_fma_mix_f32 v92, v37, v8, v92 op_sel:[0,1,0] op_sel_hi:[1,1,0]
	s_nop 0
	v_fma_mix_f32 v92, v38, v9, v92 op_sel_hi:[1,1,0]
	s_nop 0
	v_fma_mix_f32 v92, v39, v9, v92 op_sel:[0,1,0] op_sel_hi:[1,1,0]
	s_nop 0
	;; [unrolled: 4-line block ×4, first 2 shown]
	v_fma_mixlo_f16 v92, v92, v18, 0 op_sel_hi:[0,1,0]
	v_add_f16_e32 v76, v76, v92
	v_fma_mix_f32 v92, v41, v8, 0 op_sel_hi:[1,1,0]
	s_nop 0
	v_fma_mix_f32 v92, v43, v8, v92 op_sel:[0,1,0] op_sel_hi:[1,1,0]
	s_nop 0
	v_fma_mix_f32 v92, v45, v9, v92 op_sel_hi:[1,1,0]
	s_nop 0
	v_fma_mix_f32 v92, v47, v9, v92 op_sel:[0,1,0] op_sel_hi:[1,1,0]
	s_nop 0
	;; [unrolled: 4-line block ×4, first 2 shown]
	v_fma_mixlo_f16 v92, v92, v18, 0 op_sel:[0,1,0] op_sel_hi:[0,1,0]
	v_add_f16_e32 v77, v77, v92
	v_fma_mix_f32 v92, v49, v8, 0 op_sel_hi:[1,1,0]
	s_nop 0
	v_fma_mix_f32 v92, v51, v8, v92 op_sel:[0,1,0] op_sel_hi:[1,1,0]
	s_nop 0
	v_fma_mix_f32 v92, v53, v9, v92 op_sel_hi:[1,1,0]
	s_nop 0
	v_fma_mix_f32 v92, v55, v9, v92 op_sel:[0,1,0] op_sel_hi:[1,1,0]
	s_nop 0
	;; [unrolled: 4-line block ×4, first 2 shown]
	v_fma_mixlo_f16 v92, v92, v19, 0 op_sel_hi:[0,1,0]
	v_add_f16_e32 v78, v78, v92
	v_fma_mix_f32 v92, v57, v8, 0 op_sel_hi:[1,1,0]
	s_nop 0
	v_fma_mix_f32 v8, v59, v8, v92 op_sel:[0,1,0] op_sel_hi:[1,1,0]
	s_nop 0
	v_fma_mix_f32 v8, v61, v9, v8 op_sel_hi:[1,1,0]
	s_nop 0
	v_fma_mix_f32 v8, v63, v9, v8 op_sel:[0,1,0] op_sel_hi:[1,1,0]
	s_nop 0
	;; [unrolled: 4-line block ×4, first 2 shown]
	v_fma_mixlo_f16 v8, v8, v19, 0 op_sel:[0,1,0] op_sel_hi:[0,1,0]
	v_add_f16_e32 v79, v79, v8
	ds_read_b128 v[8:11], v27 offset:1808
	s_waitcnt lgkmcnt(0)
	v_fma_mix_f32 v36, v36, v8, 0 op_sel_hi:[1,1,0]
	s_nop 0
	v_fma_mix_f32 v36, v37, v8, v36 op_sel:[0,1,0] op_sel_hi:[1,1,0]
	s_nop 0
	v_fma_mix_f32 v36, v38, v9, v36 op_sel_hi:[1,1,0]
	s_nop 0
	v_fma_mix_f32 v36, v39, v9, v36 op_sel:[0,1,0] op_sel_hi:[1,1,0]
	s_nop 0
	;; [unrolled: 4-line block ×4, first 2 shown]
	v_fma_mixlo_f16 v36, v36, v18, 0 op_sel_hi:[0,1,0]
	v_add_f16_e32 v36, v21, v36
	v_fma_mix_f32 v21, v41, v8, 0 op_sel_hi:[1,1,0]
	s_nop 0
	v_fma_mix_f32 v21, v43, v8, v21 op_sel:[0,1,0] op_sel_hi:[1,1,0]
	s_nop 0
	v_fma_mix_f32 v21, v45, v9, v21 op_sel_hi:[1,1,0]
	s_nop 0
	v_fma_mix_f32 v21, v47, v9, v21 op_sel:[0,1,0] op_sel_hi:[1,1,0]
	s_nop 0
	;; [unrolled: 4-line block ×4, first 2 shown]
	v_fma_mixlo_f16 v21, v21, v18, 0 op_sel:[0,1,0] op_sel_hi:[0,1,0]
	v_add_f16_e32 v37, v20, v21
	v_fma_mix_f32 v20, v49, v8, 0 op_sel_hi:[1,1,0]
	s_nop 0
	v_fma_mix_f32 v20, v51, v8, v20 op_sel:[0,1,0] op_sel_hi:[1,1,0]
	s_nop 0
	v_fma_mix_f32 v20, v53, v9, v20 op_sel_hi:[1,1,0]
	s_nop 0
	v_fma_mix_f32 v20, v55, v9, v20 op_sel:[0,1,0] op_sel_hi:[1,1,0]
	s_nop 0
	;; [unrolled: 4-line block ×4, first 2 shown]
	v_fma_mixlo_f16 v20, v20, v19, 0 op_sel_hi:[0,1,0]
	v_add_f16_e32 v38, v15, v20
	v_fma_mix_f32 v15, v57, v8, 0 op_sel_hi:[1,1,0]
	s_nop 0
	v_fma_mix_f32 v8, v59, v8, v15 op_sel:[0,1,0] op_sel_hi:[1,1,0]
	s_nop 0
	v_fma_mix_f32 v8, v61, v9, v8 op_sel_hi:[1,1,0]
	s_nop 0
	v_fma_mix_f32 v8, v63, v9, v8 op_sel:[0,1,0] op_sel_hi:[1,1,0]
	s_nop 0
	;; [unrolled: 4-line block ×4, first 2 shown]
	v_fma_mixlo_f16 v8, v8, v19, 0 op_sel:[0,1,0] op_sel_hi:[0,1,0]
	v_add_f16_e32 v39, v14, v8
	v_lshl_add_u64 v[8:9], v[12:13], 0, s[0:1]
	global_load_dwordx4 v[12:15], v[8:9], off
	v_lshl_add_u64 v[20:21], v[8:9], 0, s[0:1]
	global_load_dwordx4 v[8:11], v[20:21], off
	s_waitcnt vmcnt(1)
	v_sub_u32_sdwa v54, v14, v29 dst_sel:DWORD dst_unused:UNUSED_PAD src0_sel:BYTE_2 src1_sel:DWORD
	v_cvt_f32_i32_e32 v54, v54
	v_sub_u32_sdwa v40, v12, v31 dst_sel:DWORD dst_unused:UNUSED_PAD src0_sel:BYTE_0 src1_sel:DWORD
	v_cvt_f32_i32_e32 v40, v40
	v_sub_u32_sdwa v41, v12, v31 dst_sel:DWORD dst_unused:UNUSED_PAD src0_sel:BYTE_1 src1_sel:DWORD
	v_cvt_f16_f32_e32 v95, v54
	s_waitcnt vmcnt(0)
	v_sub_u32_sdwa v54, v10, v29 dst_sel:DWORD dst_unused:UNUSED_PAD src0_sel:BYTE_0 src1_sel:DWORD
	v_cvt_f32_i32_e32 v54, v54
	v_cvt_f32_i32_e32 v41, v41
	v_sub_u32_sdwa v42, v12, v31 dst_sel:DWORD dst_unused:UNUSED_PAD src0_sel:BYTE_2 src1_sel:DWORD
	v_cvt_f32_i32_e32 v42, v42
	v_cvt_f16_f32_e32 v96, v54
	v_sub_u32_sdwa v54, v10, v29 dst_sel:DWORD dst_unused:UNUSED_PAD src0_sel:BYTE_1 src1_sel:DWORD
	v_cvt_f32_i32_e32 v54, v54
	v_sub_u32_sdwa v12, v12, v31 dst_sel:DWORD dst_unused:UNUSED_PAD src0_sel:BYTE_3 src1_sel:DWORD
	v_cvt_f32_i32_e32 v12, v12
	v_sub_u32_sdwa v43, v8, v31 dst_sel:DWORD dst_unused:UNUSED_PAD src0_sel:BYTE_0 src1_sel:DWORD
	v_cvt_f16_f32_e32 v97, v54
	v_sub_u32_sdwa v54, v10, v29 dst_sel:DWORD dst_unused:UNUSED_PAD src0_sel:BYTE_2 src1_sel:DWORD
	v_cvt_f32_i32_e32 v54, v54
	v_cvt_f16_f32_e32 v40, v40
	v_cvt_f32_i32_e32 v43, v43
	v_sub_u32_sdwa v44, v8, v31 dst_sel:DWORD dst_unused:UNUSED_PAD src0_sel:BYTE_1 src1_sel:DWORD
	v_cvt_f16_f32_e32 v98, v54
	v_sub_u32_sdwa v54, v15, v28 dst_sel:DWORD dst_unused:UNUSED_PAD src0_sel:BYTE_0 src1_sel:DWORD
	v_cvt_f32_i32_e32 v54, v54
	v_cvt_f16_f32_e32 v41, v41
	v_cvt_f32_i32_e32 v44, v44
	v_sub_u32_sdwa v45, v8, v31 dst_sel:DWORD dst_unused:UNUSED_PAD src0_sel:BYTE_2 src1_sel:DWORD
	v_cvt_f16_f32_e32 v99, v54
	v_sub_u32_sdwa v54, v15, v28 dst_sel:DWORD dst_unused:UNUSED_PAD src0_sel:BYTE_1 src1_sel:DWORD
	v_cvt_f32_i32_e32 v54, v54
	v_cvt_f16_f32_e32 v42, v42
	v_cvt_f32_i32_e32 v45, v45
	v_sub_u32_sdwa v8, v8, v31 dst_sel:DWORD dst_unused:UNUSED_PAD src0_sel:BYTE_3 src1_sel:DWORD
	v_cvt_f16_f32_e32 v100, v54
	v_sub_u32_sdwa v54, v15, v28 dst_sel:DWORD dst_unused:UNUSED_PAD src0_sel:BYTE_2 src1_sel:DWORD
	v_cvt_f32_i32_e32 v54, v54
	v_cvt_f16_f32_e32 v12, v12
	v_cvt_f32_i32_e32 v8, v8
	v_cvt_f16_f32_e32 v43, v43
	v_cvt_f16_f32_e32 v101, v54
	v_sub_u32_sdwa v54, v11, v28 dst_sel:DWORD dst_unused:UNUSED_PAD src0_sel:BYTE_0 src1_sel:DWORD
	v_cvt_f32_i32_e32 v54, v54
	v_sub_u32_sdwa v46, v13, v30 dst_sel:DWORD dst_unused:UNUSED_PAD src0_sel:BYTE_0 src1_sel:DWORD
	v_cvt_f16_f32_e32 v44, v44
	v_cvt_f32_i32_e32 v46, v46
	v_cvt_f16_f32_e32 v102, v54
	v_sub_u32_sdwa v54, v11, v28 dst_sel:DWORD dst_unused:UNUSED_PAD src0_sel:BYTE_1 src1_sel:DWORD
	v_cvt_f32_i32_e32 v54, v54
	v_sub_u32_sdwa v47, v13, v30 dst_sel:DWORD dst_unused:UNUSED_PAD src0_sel:BYTE_1 src1_sel:DWORD
	v_cvt_f16_f32_e32 v45, v45
	v_cvt_f32_i32_e32 v47, v47
	v_cvt_f16_f32_e32 v103, v54
	v_sub_u32_sdwa v54, v11, v28 dst_sel:DWORD dst_unused:UNUSED_PAD src0_sel:BYTE_2 src1_sel:DWORD
	v_cvt_f32_i32_e32 v54, v54
	v_sub_u32_sdwa v48, v13, v30 dst_sel:DWORD dst_unused:UNUSED_PAD src0_sel:BYTE_2 src1_sel:DWORD
	v_cvt_f16_f32_e32 v8, v8
	v_cvt_f32_i32_e32 v48, v48
	v_cvt_f16_f32_e32 v104, v54
	v_fma_mix_f32 v54, v40, v4, 0 op_sel_hi:[1,1,0]
	v_sub_u32_sdwa v13, v13, v30 dst_sel:DWORD dst_unused:UNUSED_PAD src0_sel:BYTE_3 src1_sel:DWORD
	v_fma_mix_f32 v54, v41, v4, v54 op_sel:[0,1,0] op_sel_hi:[1,1,0]
	v_cvt_f32_i32_e32 v13, v13
	v_fma_mix_f32 v54, v42, v5, v54 op_sel_hi:[1,1,0]
	v_sub_u32_sdwa v49, v9, v30 dst_sel:DWORD dst_unused:UNUSED_PAD src0_sel:BYTE_0 src1_sel:DWORD
	v_fma_mix_f32 v54, v12, v5, v54 op_sel:[0,1,0] op_sel_hi:[1,1,0]
	v_cvt_f16_f32_e32 v46, v46
	v_fma_mix_f32 v54, v43, v6, v54 op_sel_hi:[1,1,0]
	v_cvt_f32_i32_e32 v49, v49
	v_sub_u32_sdwa v50, v9, v30 dst_sel:DWORD dst_unused:UNUSED_PAD src0_sel:BYTE_1 src1_sel:DWORD
	v_fma_mix_f32 v54, v44, v6, v54 op_sel:[0,1,0] op_sel_hi:[1,1,0]
	v_cvt_f16_f32_e32 v47, v47
	v_cvt_f32_i32_e32 v50, v50
	v_sub_u32_sdwa v51, v9, v30 dst_sel:DWORD dst_unused:UNUSED_PAD src0_sel:BYTE_2 src1_sel:DWORD
	v_fma_mix_f32 v54, v45, v7, v54 op_sel_hi:[1,1,0]
	v_cvt_f16_f32_e32 v48, v48
	v_cvt_f32_i32_e32 v51, v51
	v_sub_u32_sdwa v9, v9, v30 dst_sel:DWORD dst_unused:UNUSED_PAD src0_sel:BYTE_3 src1_sel:DWORD
	v_fma_mix_f32 v54, v8, v7, v54 op_sel:[0,1,0] op_sel_hi:[1,1,0]
	v_cvt_f16_f32_e32 v13, v13
	v_cvt_f32_i32_e32 v9, v9
	v_fma_mixlo_f16 v54, v54, v18, 0 op_sel_hi:[0,1,0]
	v_cvt_f16_f32_e32 v49, v49
	v_sub_u32_sdwa v52, v14, v29 dst_sel:DWORD dst_unused:UNUSED_PAD src0_sel:BYTE_0 src1_sel:DWORD
	v_add_f16_e32 v105, v35, v54
	v_fma_mix_f32 v35, v46, v4, 0 op_sel_hi:[1,1,0]
	v_cvt_f16_f32_e32 v50, v50
	v_cvt_f32_i32_e32 v52, v52
	v_sub_u32_sdwa v53, v14, v29 dst_sel:DWORD dst_unused:UNUSED_PAD src0_sel:BYTE_1 src1_sel:DWORD
	v_fma_mix_f32 v35, v47, v4, v35 op_sel:[0,1,0] op_sel_hi:[1,1,0]
	v_cvt_f16_f32_e32 v51, v51
	v_cvt_f32_i32_e32 v53, v53
	v_fma_mix_f32 v35, v48, v5, v35 op_sel_hi:[1,1,0]
	v_cvt_f16_f32_e32 v9, v9
	v_sub_u32_sdwa v14, v14, v29 dst_sel:DWORD dst_unused:UNUSED_PAD src0_sel:BYTE_3 src1_sel:DWORD
	v_fma_mix_f32 v35, v13, v5, v35 op_sel:[0,1,0] op_sel_hi:[1,1,0]
	v_cvt_f32_i32_e32 v14, v14
	v_fma_mix_f32 v35, v49, v6, v35 op_sel_hi:[1,1,0]
	v_cvt_f16_f32_e32 v52, v52
	v_fma_mix_f32 v35, v50, v6, v35 op_sel:[0,1,0] op_sel_hi:[1,1,0]
	v_cvt_f16_f32_e32 v53, v53
	v_fma_mix_f32 v35, v51, v7, v35 op_sel_hi:[1,1,0]
	v_sub_u32_sdwa v10, v10, v29 dst_sel:DWORD dst_unused:UNUSED_PAD src0_sel:BYTE_3 src1_sel:DWORD
	v_fma_mix_f32 v35, v9, v7, v35 op_sel:[0,1,0] op_sel_hi:[1,1,0]
	v_cvt_f16_f32_e32 v14, v14
	v_cvt_f32_i32_e32 v10, v10
	v_fma_mixlo_f16 v35, v35, v18, 0 op_sel:[0,1,0] op_sel_hi:[0,1,0]
	v_add_f16_e32 v106, v34, v35
	v_fma_mix_f32 v34, v52, v4, 0 op_sel_hi:[1,1,0]
	v_cvt_f16_f32_e32 v10, v10
	v_fma_mix_f32 v34, v53, v4, v34 op_sel:[0,1,0] op_sel_hi:[1,1,0]
	v_sub_u32_sdwa v15, v15, v28 dst_sel:DWORD dst_unused:UNUSED_PAD src0_sel:BYTE_3 src1_sel:DWORD
	v_fma_mix_f32 v34, v95, v5, v34 op_sel_hi:[1,1,0]
	v_cvt_f32_i32_e32 v15, v15
	v_fma_mix_f32 v34, v14, v5, v34 op_sel:[0,1,0] op_sel_hi:[1,1,0]
	v_sub_u32_sdwa v11, v11, v28 dst_sel:DWORD dst_unused:UNUSED_PAD src0_sel:BYTE_3 src1_sel:DWORD
	v_fma_mix_f32 v34, v96, v6, v34 op_sel_hi:[1,1,0]
	v_cvt_f16_f32_e32 v15, v15
	v_fma_mix_f32 v34, v97, v6, v34 op_sel:[0,1,0] op_sel_hi:[1,1,0]
	v_cvt_f32_i32_e32 v11, v11
	v_fma_mix_f32 v34, v98, v7, v34 op_sel_hi:[1,1,0]
	v_cvt_f16_f32_e32 v11, v11
	v_fma_mix_f32 v34, v10, v7, v34 op_sel:[0,1,0] op_sel_hi:[1,1,0]
	s_nop 0
	v_fma_mixlo_f16 v34, v34, v19, 0 op_sel_hi:[0,1,0]
	v_add_f16_e32 v107, v33, v34
	v_fma_mix_f32 v33, v99, v4, 0 op_sel_hi:[1,1,0]
	s_nop 0
	v_fma_mix_f32 v4, v100, v4, v33 op_sel:[0,1,0] op_sel_hi:[1,1,0]
	s_nop 0
	v_fma_mix_f32 v4, v101, v5, v4 op_sel_hi:[1,1,0]
	s_nop 0
	v_fma_mix_f32 v4, v15, v5, v4 op_sel:[0,1,0] op_sel_hi:[1,1,0]
	s_nop 0
	;; [unrolled: 4-line block ×4, first 2 shown]
	v_fma_mixlo_f16 v4, v4, v19, 0 op_sel:[0,1,0] op_sel_hi:[0,1,0]
	v_add_f16_e32 v108, v32, v4
	ds_read_b128 v[4:7], v27 offset:288
	s_waitcnt lgkmcnt(0)
	v_fma_mix_f32 v32, v40, v4, 0 op_sel_hi:[1,1,0]
	s_nop 0
	v_fma_mix_f32 v32, v41, v4, v32 op_sel:[0,1,0] op_sel_hi:[1,1,0]
	s_nop 0
	v_fma_mix_f32 v32, v42, v5, v32 op_sel_hi:[1,1,0]
	s_nop 0
	v_fma_mix_f32 v32, v12, v5, v32 op_sel:[0,1,0] op_sel_hi:[1,1,0]
	s_nop 0
	;; [unrolled: 4-line block ×4, first 2 shown]
	v_fma_mixlo_f16 v32, v32, v18, 0 op_sel_hi:[0,1,0]
	v_add_f16_e32 v55, v68, v32
	v_fma_mix_f32 v32, v46, v4, 0 op_sel_hi:[1,1,0]
	s_nop 0
	v_fma_mix_f32 v32, v47, v4, v32 op_sel:[0,1,0] op_sel_hi:[1,1,0]
	s_nop 0
	v_fma_mix_f32 v32, v48, v5, v32 op_sel_hi:[1,1,0]
	s_nop 0
	v_fma_mix_f32 v32, v13, v5, v32 op_sel:[0,1,0] op_sel_hi:[1,1,0]
	s_nop 0
	;; [unrolled: 4-line block ×4, first 2 shown]
	v_fma_mixlo_f16 v32, v32, v18, 0 op_sel:[0,1,0] op_sel_hi:[0,1,0]
	v_add_f16_e32 v94, v69, v32
	v_fma_mix_f32 v32, v52, v4, 0 op_sel_hi:[1,1,0]
	s_nop 0
	v_fma_mix_f32 v32, v53, v4, v32 op_sel:[0,1,0] op_sel_hi:[1,1,0]
	s_nop 0
	v_fma_mix_f32 v32, v95, v5, v32 op_sel_hi:[1,1,0]
	s_nop 0
	v_fma_mix_f32 v32, v14, v5, v32 op_sel:[0,1,0] op_sel_hi:[1,1,0]
	s_nop 0
	;; [unrolled: 4-line block ×4, first 2 shown]
	v_fma_mixlo_f16 v32, v32, v19, 0 op_sel_hi:[0,1,0]
	v_add_f16_e32 v54, v70, v32
	v_fma_mix_f32 v32, v99, v4, 0 op_sel_hi:[1,1,0]
	s_nop 0
	v_fma_mix_f32 v4, v100, v4, v32 op_sel:[0,1,0] op_sel_hi:[1,1,0]
	s_nop 0
	v_fma_mix_f32 v4, v101, v5, v4 op_sel_hi:[1,1,0]
	s_nop 0
	v_fma_mix_f32 v4, v15, v5, v4 op_sel:[0,1,0] op_sel_hi:[1,1,0]
	s_nop 0
	;; [unrolled: 4-line block ×4, first 2 shown]
	v_fma_mixlo_f16 v4, v4, v19, 0 op_sel:[0,1,0] op_sel_hi:[0,1,0]
	v_add_f16_e32 v93, v71, v4
	ds_read_b128 v[4:7], v27 offset:544
	s_waitcnt lgkmcnt(0)
	v_fma_mix_f32 v32, v40, v4, 0 op_sel_hi:[1,1,0]
	s_nop 0
	v_fma_mix_f32 v32, v41, v4, v32 op_sel:[0,1,0] op_sel_hi:[1,1,0]
	s_nop 0
	v_fma_mix_f32 v32, v42, v5, v32 op_sel_hi:[1,1,0]
	s_nop 0
	v_fma_mix_f32 v32, v12, v5, v32 op_sel:[0,1,0] op_sel_hi:[1,1,0]
	s_nop 0
	;; [unrolled: 4-line block ×4, first 2 shown]
	v_fma_mixlo_f16 v32, v32, v18, 0 op_sel_hi:[0,1,0]
	v_add_f16_e32 v57, v72, v32
	v_fma_mix_f32 v32, v46, v4, 0 op_sel_hi:[1,1,0]
	s_nop 0
	v_fma_mix_f32 v32, v47, v4, v32 op_sel:[0,1,0] op_sel_hi:[1,1,0]
	s_nop 0
	v_fma_mix_f32 v32, v48, v5, v32 op_sel_hi:[1,1,0]
	s_nop 0
	v_fma_mix_f32 v32, v13, v5, v32 op_sel:[0,1,0] op_sel_hi:[1,1,0]
	s_nop 0
	;; [unrolled: 4-line block ×4, first 2 shown]
	v_fma_mixlo_f16 v32, v32, v18, 0 op_sel:[0,1,0] op_sel_hi:[0,1,0]
	v_add_f16_e32 v92, v73, v32
	v_fma_mix_f32 v32, v52, v4, 0 op_sel_hi:[1,1,0]
	s_nop 0
	v_fma_mix_f32 v32, v53, v4, v32 op_sel:[0,1,0] op_sel_hi:[1,1,0]
	s_nop 0
	v_fma_mix_f32 v32, v95, v5, v32 op_sel_hi:[1,1,0]
	s_nop 0
	v_fma_mix_f32 v32, v14, v5, v32 op_sel:[0,1,0] op_sel_hi:[1,1,0]
	s_nop 0
	;; [unrolled: 4-line block ×4, first 2 shown]
	v_fma_mixlo_f16 v32, v32, v19, 0 op_sel_hi:[0,1,0]
	v_add_f16_e32 v56, v74, v32
	v_fma_mix_f32 v32, v99, v4, 0 op_sel_hi:[1,1,0]
	s_nop 0
	v_fma_mix_f32 v4, v100, v4, v32 op_sel:[0,1,0] op_sel_hi:[1,1,0]
	s_nop 0
	v_fma_mix_f32 v4, v101, v5, v4 op_sel_hi:[1,1,0]
	s_nop 0
	v_fma_mix_f32 v4, v15, v5, v4 op_sel:[0,1,0] op_sel_hi:[1,1,0]
	s_nop 0
	;; [unrolled: 4-line block ×4, first 2 shown]
	v_fma_mixlo_f16 v4, v4, v19, 0 op_sel:[0,1,0] op_sel_hi:[0,1,0]
	v_add_f16_e32 v74, v75, v4
	ds_read_b128 v[4:7], v27 offset:800
	s_waitcnt lgkmcnt(0)
	v_fma_mix_f32 v32, v40, v4, 0 op_sel_hi:[1,1,0]
	s_nop 0
	v_fma_mix_f32 v32, v41, v4, v32 op_sel:[0,1,0] op_sel_hi:[1,1,0]
	s_nop 0
	v_fma_mix_f32 v32, v42, v5, v32 op_sel_hi:[1,1,0]
	s_nop 0
	v_fma_mix_f32 v32, v12, v5, v32 op_sel:[0,1,0] op_sel_hi:[1,1,0]
	s_nop 0
	;; [unrolled: 4-line block ×4, first 2 shown]
	v_fma_mixlo_f16 v32, v32, v18, 0 op_sel_hi:[0,1,0]
	v_add_f16_e32 v59, v80, v32
	v_fma_mix_f32 v32, v46, v4, 0 op_sel_hi:[1,1,0]
	s_nop 0
	v_fma_mix_f32 v32, v47, v4, v32 op_sel:[0,1,0] op_sel_hi:[1,1,0]
	s_nop 0
	v_fma_mix_f32 v32, v48, v5, v32 op_sel_hi:[1,1,0]
	s_nop 0
	v_fma_mix_f32 v32, v13, v5, v32 op_sel:[0,1,0] op_sel_hi:[1,1,0]
	s_nop 0
	;; [unrolled: 4-line block ×4, first 2 shown]
	v_fma_mixlo_f16 v32, v32, v18, 0 op_sel:[0,1,0] op_sel_hi:[0,1,0]
	v_add_f16_e32 v73, v81, v32
	v_fma_mix_f32 v32, v52, v4, 0 op_sel_hi:[1,1,0]
	s_nop 0
	v_fma_mix_f32 v32, v53, v4, v32 op_sel:[0,1,0] op_sel_hi:[1,1,0]
	s_nop 0
	v_fma_mix_f32 v32, v95, v5, v32 op_sel_hi:[1,1,0]
	s_nop 0
	v_fma_mix_f32 v32, v14, v5, v32 op_sel:[0,1,0] op_sel_hi:[1,1,0]
	s_nop 0
	;; [unrolled: 4-line block ×4, first 2 shown]
	v_fma_mixlo_f16 v32, v32, v19, 0 op_sel_hi:[0,1,0]
	v_add_f16_e32 v58, v82, v32
	v_fma_mix_f32 v32, v99, v4, 0 op_sel_hi:[1,1,0]
	s_nop 0
	v_fma_mix_f32 v4, v100, v4, v32 op_sel:[0,1,0] op_sel_hi:[1,1,0]
	s_nop 0
	v_fma_mix_f32 v4, v101, v5, v4 op_sel_hi:[1,1,0]
	s_nop 0
	v_fma_mix_f32 v4, v15, v5, v4 op_sel:[0,1,0] op_sel_hi:[1,1,0]
	s_nop 0
	;; [unrolled: 4-line block ×4, first 2 shown]
	v_fma_mixlo_f16 v4, v4, v19, 0 op_sel:[0,1,0] op_sel_hi:[0,1,0]
	v_add_f16_e32 v72, v83, v4
	ds_read_b128 v[4:7], v27 offset:1056
	s_waitcnt lgkmcnt(0)
	v_fma_mix_f32 v32, v40, v4, 0 op_sel_hi:[1,1,0]
	s_nop 0
	v_fma_mix_f32 v32, v41, v4, v32 op_sel:[0,1,0] op_sel_hi:[1,1,0]
	s_nop 0
	v_fma_mix_f32 v32, v42, v5, v32 op_sel_hi:[1,1,0]
	s_nop 0
	v_fma_mix_f32 v32, v12, v5, v32 op_sel:[0,1,0] op_sel_hi:[1,1,0]
	s_nop 0
	;; [unrolled: 4-line block ×4, first 2 shown]
	v_fma_mixlo_f16 v32, v32, v18, 0 op_sel_hi:[0,1,0]
	v_add_f16_e32 v61, v88, v32
	v_fma_mix_f32 v32, v46, v4, 0 op_sel_hi:[1,1,0]
	s_nop 0
	v_fma_mix_f32 v32, v47, v4, v32 op_sel:[0,1,0] op_sel_hi:[1,1,0]
	s_nop 0
	v_fma_mix_f32 v32, v48, v5, v32 op_sel_hi:[1,1,0]
	s_nop 0
	v_fma_mix_f32 v32, v13, v5, v32 op_sel:[0,1,0] op_sel_hi:[1,1,0]
	s_nop 0
	;; [unrolled: 4-line block ×4, first 2 shown]
	v_fma_mixlo_f16 v32, v32, v18, 0 op_sel:[0,1,0] op_sel_hi:[0,1,0]
	v_add_f16_e32 v71, v89, v32
	v_fma_mix_f32 v32, v52, v4, 0 op_sel_hi:[1,1,0]
	s_nop 0
	v_fma_mix_f32 v32, v53, v4, v32 op_sel:[0,1,0] op_sel_hi:[1,1,0]
	s_nop 0
	v_fma_mix_f32 v32, v95, v5, v32 op_sel_hi:[1,1,0]
	s_nop 0
	v_fma_mix_f32 v32, v14, v5, v32 op_sel:[0,1,0] op_sel_hi:[1,1,0]
	s_nop 0
	;; [unrolled: 4-line block ×4, first 2 shown]
	v_fma_mixlo_f16 v32, v32, v19, 0 op_sel_hi:[0,1,0]
	v_add_f16_e32 v60, v90, v32
	v_fma_mix_f32 v32, v99, v4, 0 op_sel_hi:[1,1,0]
	s_nop 0
	v_fma_mix_f32 v4, v100, v4, v32 op_sel:[0,1,0] op_sel_hi:[1,1,0]
	s_nop 0
	v_fma_mix_f32 v4, v101, v5, v4 op_sel_hi:[1,1,0]
	s_nop 0
	v_fma_mix_f32 v4, v15, v5, v4 op_sel:[0,1,0] op_sel_hi:[1,1,0]
	s_nop 0
	;; [unrolled: 4-line block ×4, first 2 shown]
	v_fma_mixlo_f16 v4, v4, v19, 0 op_sel:[0,1,0] op_sel_hi:[0,1,0]
	v_add_f16_e32 v70, v91, v4
	ds_read_b128 v[4:7], v27 offset:1312
	s_waitcnt lgkmcnt(0)
	v_fma_mix_f32 v32, v40, v4, 0 op_sel_hi:[1,1,0]
	s_nop 0
	v_fma_mix_f32 v32, v41, v4, v32 op_sel:[0,1,0] op_sel_hi:[1,1,0]
	s_nop 0
	v_fma_mix_f32 v32, v42, v5, v32 op_sel_hi:[1,1,0]
	s_nop 0
	v_fma_mix_f32 v32, v12, v5, v32 op_sel:[0,1,0] op_sel_hi:[1,1,0]
	s_nop 0
	;; [unrolled: 4-line block ×4, first 2 shown]
	v_fma_mixlo_f16 v32, v32, v18, 0 op_sel_hi:[0,1,0]
	v_add_f16_e32 v63, v84, v32
	v_fma_mix_f32 v32, v46, v4, 0 op_sel_hi:[1,1,0]
	s_nop 0
	v_fma_mix_f32 v32, v47, v4, v32 op_sel:[0,1,0] op_sel_hi:[1,1,0]
	s_nop 0
	v_fma_mix_f32 v32, v48, v5, v32 op_sel_hi:[1,1,0]
	s_nop 0
	v_fma_mix_f32 v32, v13, v5, v32 op_sel:[0,1,0] op_sel_hi:[1,1,0]
	s_nop 0
	;; [unrolled: 4-line block ×4, first 2 shown]
	v_fma_mixlo_f16 v32, v32, v18, 0 op_sel:[0,1,0] op_sel_hi:[0,1,0]
	v_add_f16_e32 v69, v85, v32
	v_fma_mix_f32 v32, v52, v4, 0 op_sel_hi:[1,1,0]
	s_nop 0
	v_fma_mix_f32 v32, v53, v4, v32 op_sel:[0,1,0] op_sel_hi:[1,1,0]
	s_nop 0
	v_fma_mix_f32 v32, v95, v5, v32 op_sel_hi:[1,1,0]
	s_nop 0
	v_fma_mix_f32 v32, v14, v5, v32 op_sel:[0,1,0] op_sel_hi:[1,1,0]
	s_nop 0
	;; [unrolled: 4-line block ×4, first 2 shown]
	v_fma_mixlo_f16 v32, v32, v19, 0 op_sel_hi:[0,1,0]
	v_add_f16_e32 v62, v86, v32
	v_fma_mix_f32 v32, v99, v4, 0 op_sel_hi:[1,1,0]
	s_nop 0
	v_fma_mix_f32 v4, v100, v4, v32 op_sel:[0,1,0] op_sel_hi:[1,1,0]
	s_nop 0
	v_fma_mix_f32 v4, v101, v5, v4 op_sel_hi:[1,1,0]
	s_nop 0
	v_fma_mix_f32 v4, v15, v5, v4 op_sel:[0,1,0] op_sel_hi:[1,1,0]
	s_nop 0
	v_fma_mix_f32 v4, v102, v6, v4 op_sel_hi:[1,1,0]
	s_nop 0
	v_fma_mix_f32 v4, v103, v6, v4 op_sel:[0,1,0] op_sel_hi:[1,1,0]
	s_nop 0
	v_fma_mix_f32 v4, v104, v7, v4 op_sel_hi:[1,1,0]
	s_nop 0
	v_fma_mix_f32 v4, v11, v7, v4 op_sel:[0,1,0] op_sel_hi:[1,1,0]
	s_nop 0
	v_fma_mixlo_f16 v4, v4, v19, 0 op_sel:[0,1,0] op_sel_hi:[0,1,0]
	v_add_f16_e32 v68, v87, v4
	ds_read_b128 v[4:7], v27 offset:1568
	s_waitcnt lgkmcnt(0)
	v_fma_mix_f32 v32, v40, v4, 0 op_sel_hi:[1,1,0]
	s_nop 0
	v_fma_mix_f32 v32, v41, v4, v32 op_sel:[0,1,0] op_sel_hi:[1,1,0]
	s_nop 0
	v_fma_mix_f32 v32, v42, v5, v32 op_sel_hi:[1,1,0]
	s_nop 0
	v_fma_mix_f32 v32, v12, v5, v32 op_sel:[0,1,0] op_sel_hi:[1,1,0]
	s_nop 0
	;; [unrolled: 4-line block ×4, first 2 shown]
	v_fma_mixlo_f16 v32, v32, v18, 0 op_sel_hi:[0,1,0]
	v_add_f16_e32 v65, v76, v32
	v_fma_mix_f32 v32, v46, v4, 0 op_sel_hi:[1,1,0]
	s_nop 0
	v_fma_mix_f32 v32, v47, v4, v32 op_sel:[0,1,0] op_sel_hi:[1,1,0]
	s_nop 0
	v_fma_mix_f32 v32, v48, v5, v32 op_sel_hi:[1,1,0]
	s_nop 0
	v_fma_mix_f32 v32, v13, v5, v32 op_sel:[0,1,0] op_sel_hi:[1,1,0]
	s_nop 0
	;; [unrolled: 4-line block ×4, first 2 shown]
	v_fma_mixlo_f16 v32, v32, v18, 0 op_sel:[0,1,0] op_sel_hi:[0,1,0]
	v_add_f16_e32 v67, v77, v32
	v_fma_mix_f32 v32, v52, v4, 0 op_sel_hi:[1,1,0]
	s_nop 0
	v_fma_mix_f32 v32, v53, v4, v32 op_sel:[0,1,0] op_sel_hi:[1,1,0]
	s_nop 0
	v_fma_mix_f32 v32, v95, v5, v32 op_sel_hi:[1,1,0]
	s_nop 0
	v_fma_mix_f32 v32, v14, v5, v32 op_sel:[0,1,0] op_sel_hi:[1,1,0]
	s_nop 0
	;; [unrolled: 4-line block ×4, first 2 shown]
	v_fma_mixlo_f16 v32, v32, v19, 0 op_sel_hi:[0,1,0]
	v_add_f16_e32 v64, v78, v32
	v_fma_mix_f32 v32, v99, v4, 0 op_sel_hi:[1,1,0]
	s_nop 0
	v_fma_mix_f32 v4, v100, v4, v32 op_sel:[0,1,0] op_sel_hi:[1,1,0]
	ds_read_b128 v[32:35], v27 offset:1824
	v_fma_mix_f32 v4, v101, v5, v4 op_sel_hi:[1,1,0]
	s_nop 0
	v_fma_mix_f32 v4, v15, v5, v4 op_sel:[0,1,0] op_sel_hi:[1,1,0]
	s_nop 0
	v_fma_mix_f32 v4, v102, v6, v4 op_sel_hi:[1,1,0]
	s_nop 0
	v_fma_mix_f32 v4, v103, v6, v4 op_sel:[0,1,0] op_sel_hi:[1,1,0]
	s_nop 0
	v_fma_mix_f32 v4, v104, v7, v4 op_sel_hi:[1,1,0]
	s_nop 0
	v_fma_mix_f32 v4, v11, v7, v4 op_sel:[0,1,0] op_sel_hi:[1,1,0]
	s_nop 0
	v_fma_mixlo_f16 v4, v4, v19, 0 op_sel:[0,1,0] op_sel_hi:[0,1,0]
	v_add_f16_e32 v66, v79, v4
	s_waitcnt lgkmcnt(0)
	v_fma_mix_f32 v4, v40, v32, 0 op_sel_hi:[1,1,0]
	s_nop 0
	v_fma_mix_f32 v4, v41, v32, v4 op_sel:[0,1,0] op_sel_hi:[1,1,0]
	s_nop 0
	v_fma_mix_f32 v4, v42, v33, v4 op_sel_hi:[1,1,0]
	s_nop 0
	v_fma_mix_f32 v4, v12, v33, v4 op_sel:[0,1,0] op_sel_hi:[1,1,0]
	s_nop 0
	;; [unrolled: 4-line block ×4, first 2 shown]
	v_fma_mixlo_f16 v4, v4, v18, 0 op_sel_hi:[0,1,0]
	v_add_f16_e32 v8, v36, v4
	v_fma_mix_f32 v4, v46, v32, 0 op_sel_hi:[1,1,0]
	s_nop 0
	v_fma_mix_f32 v4, v47, v32, v4 op_sel:[0,1,0] op_sel_hi:[1,1,0]
	s_nop 0
	v_fma_mix_f32 v4, v48, v33, v4 op_sel_hi:[1,1,0]
	s_nop 0
	v_fma_mix_f32 v4, v13, v33, v4 op_sel:[0,1,0] op_sel_hi:[1,1,0]
	s_nop 0
	;; [unrolled: 4-line block ×4, first 2 shown]
	v_fma_mixlo_f16 v4, v4, v18, 0 op_sel:[0,1,0] op_sel_hi:[0,1,0]
	v_add_f16_e32 v9, v37, v4
	v_fma_mix_f32 v4, v52, v32, 0 op_sel_hi:[1,1,0]
	s_nop 0
	v_fma_mix_f32 v4, v53, v32, v4 op_sel:[0,1,0] op_sel_hi:[1,1,0]
	s_nop 0
	v_fma_mix_f32 v4, v95, v33, v4 op_sel_hi:[1,1,0]
	s_nop 0
	v_fma_mix_f32 v4, v14, v33, v4 op_sel:[0,1,0] op_sel_hi:[1,1,0]
	s_nop 0
	;; [unrolled: 4-line block ×4, first 2 shown]
	v_fma_mixlo_f16 v4, v4, v19, 0 op_sel_hi:[0,1,0]
	v_add_f16_e32 v6, v38, v4
	v_fma_mix_f32 v4, v99, v32, 0 op_sel_hi:[1,1,0]
	s_nop 0
	v_fma_mix_f32 v4, v100, v32, v4 op_sel:[0,1,0] op_sel_hi:[1,1,0]
	s_nop 0
	v_fma_mix_f32 v4, v101, v33, v4 op_sel_hi:[1,1,0]
	s_nop 0
	v_fma_mix_f32 v4, v15, v33, v4 op_sel:[0,1,0] op_sel_hi:[1,1,0]
	s_nop 0
	;; [unrolled: 4-line block ×4, first 2 shown]
	v_fma_mixlo_f16 v4, v4, v19, 0 op_sel:[0,1,0] op_sel_hi:[0,1,0]
	v_add_f16_e32 v7, v39, v4
	v_lshl_add_u64 v[4:5], v[20:21], 0, s[0:1]
	global_load_dwordx4 v[48:51], v[4:5], off
	v_lshl_add_u64 v[4:5], v[4:5], 0, s[0:1]
	global_load_dwordx4 v[76:79], v[4:5], off
	s_waitcnt vmcnt(1)
	v_sub_u32_sdwa v10, v48, v31 dst_sel:DWORD dst_unused:UNUSED_PAD src0_sel:BYTE_0 src1_sel:DWORD
	v_sub_u32_sdwa v11, v48, v31 dst_sel:DWORD dst_unused:UNUSED_PAD src0_sel:BYTE_1 src1_sel:DWORD
	s_waitcnt vmcnt(0)
	v_sub_u32_sdwa v14, v76, v31 dst_sel:DWORD dst_unused:UNUSED_PAD src0_sel:BYTE_0 src1_sel:DWORD
	v_cvt_f32_i32_e32 v14, v14
	v_sub_u32_sdwa v12, v48, v31 dst_sel:DWORD dst_unused:UNUSED_PAD src0_sel:BYTE_2 src1_sel:DWORD
	v_sub_u32_sdwa v13, v48, v31 dst_sel:DWORD dst_unused:UNUSED_PAD src0_sel:BYTE_3 src1_sel:DWORD
	v_cvt_f32_i32_e32 v10, v10
	v_cvt_f16_f32_e32 v20, v14
	v_sub_u32_sdwa v14, v76, v31 dst_sel:DWORD dst_unused:UNUSED_PAD src0_sel:BYTE_1 src1_sel:DWORD
	v_cvt_f32_i32_e32 v14, v14
	v_cvt_f32_i32_e32 v11, v11
	;; [unrolled: 1-line block ×4, first 2 shown]
	v_cvt_f16_f32_e32 v21, v14
	v_sub_u32_sdwa v14, v76, v31 dst_sel:DWORD dst_unused:UNUSED_PAD src0_sel:BYTE_2 src1_sel:DWORD
	v_cvt_f32_i32_e32 v14, v14
	v_cvt_f16_f32_e32 v10, v10
	v_cvt_f16_f32_e32 v11, v11
	;; [unrolled: 1-line block ×4, first 2 shown]
	v_sub_u32_sdwa v14, v76, v31 dst_sel:DWORD dst_unused:UNUSED_PAD src0_sel:BYTE_3 src1_sel:DWORD
	v_cvt_f32_i32_e32 v14, v14
	v_cvt_f16_f32_e32 v13, v13
	v_cvt_f16_f32_e32 v31, v14
	v_sub_u32_sdwa v14, v49, v30 dst_sel:DWORD dst_unused:UNUSED_PAD src0_sel:BYTE_0 src1_sel:DWORD
	v_cvt_f32_i32_e32 v14, v14
	v_cvt_f16_f32_e32 v33, v14
	v_sub_u32_sdwa v14, v49, v30 dst_sel:DWORD dst_unused:UNUSED_PAD src0_sel:BYTE_1 src1_sel:DWORD
	v_cvt_f32_i32_e32 v14, v14
	v_fma_mix_f32 v15, v33, v0, 0 op_sel_hi:[1,1,0]
	v_cvt_f16_f32_e32 v34, v14
	v_sub_u32_sdwa v14, v49, v30 dst_sel:DWORD dst_unused:UNUSED_PAD src0_sel:BYTE_2 src1_sel:DWORD
	v_cvt_f32_i32_e32 v14, v14
	v_fma_mix_f32 v15, v34, v0, v15 op_sel:[0,1,0] op_sel_hi:[1,1,0]
	v_cvt_f16_f32_e32 v35, v14
	v_sub_u32_sdwa v14, v49, v30 dst_sel:DWORD dst_unused:UNUSED_PAD src0_sel:BYTE_3 src1_sel:DWORD
	v_cvt_f32_i32_e32 v14, v14
	v_fma_mix_f32 v15, v35, v1, v15 op_sel_hi:[1,1,0]
	v_cvt_f16_f32_e32 v36, v14
	v_sub_u32_sdwa v14, v77, v30 dst_sel:DWORD dst_unused:UNUSED_PAD src0_sel:BYTE_0 src1_sel:DWORD
	v_cvt_f32_i32_e32 v14, v14
	v_fma_mix_f32 v15, v36, v1, v15 op_sel:[0,1,0] op_sel_hi:[1,1,0]
	v_cvt_f16_f32_e32 v37, v14
	v_sub_u32_sdwa v14, v77, v30 dst_sel:DWORD dst_unused:UNUSED_PAD src0_sel:BYTE_1 src1_sel:DWORD
	v_cvt_f32_i32_e32 v14, v14
	v_fma_mix_f32 v15, v37, v2, v15 op_sel_hi:[1,1,0]
	v_cvt_f16_f32_e32 v38, v14
	v_sub_u32_sdwa v14, v77, v30 dst_sel:DWORD dst_unused:UNUSED_PAD src0_sel:BYTE_2 src1_sel:DWORD
	v_cvt_f32_i32_e32 v14, v14
	v_fma_mix_f32 v15, v38, v2, v15 op_sel:[0,1,0] op_sel_hi:[1,1,0]
	v_cvt_f16_f32_e32 v39, v14
	v_sub_u32_sdwa v14, v77, v30 dst_sel:DWORD dst_unused:UNUSED_PAD src0_sel:BYTE_3 src1_sel:DWORD
	v_cvt_f32_i32_e32 v14, v14
	v_fma_mix_f32 v15, v39, v3, v15 op_sel_hi:[1,1,0]
	v_cvt_f16_f32_e32 v40, v14
	v_sub_u32_sdwa v14, v50, v29 dst_sel:DWORD dst_unused:UNUSED_PAD src0_sel:BYTE_0 src1_sel:DWORD
	v_cvt_f32_i32_e32 v14, v14
	v_fma_mix_f32 v15, v40, v3, v15 op_sel:[0,1,0] op_sel_hi:[1,1,0]
	s_nop 0
	v_fma_mixlo_f16 v15, v15, v18, 0 op_sel:[0,1,0] op_sel_hi:[0,1,0]
	v_cvt_f16_f32_e32 v30, v14
	v_sub_u32_sdwa v14, v50, v29 dst_sel:DWORD dst_unused:UNUSED_PAD src0_sel:BYTE_1 src1_sel:DWORD
	v_cvt_f32_i32_e32 v14, v14
	v_add_f16_e32 v15, v106, v15
	v_cvt_f16_f32_e32 v41, v14
	v_sub_u32_sdwa v14, v50, v29 dst_sel:DWORD dst_unused:UNUSED_PAD src0_sel:BYTE_2 src1_sel:DWORD
	v_cvt_f32_i32_e32 v14, v14
	v_cvt_f16_f32_e32 v42, v14
	v_sub_u32_sdwa v14, v50, v29 dst_sel:DWORD dst_unused:UNUSED_PAD src0_sel:BYTE_3 src1_sel:DWORD
	v_cvt_f32_i32_e32 v14, v14
	v_cvt_f16_f32_e32 v43, v14
	v_sub_u32_sdwa v14, v78, v29 dst_sel:DWORD dst_unused:UNUSED_PAD src0_sel:BYTE_0 src1_sel:DWORD
	v_cvt_f32_i32_e32 v14, v14
	v_cvt_f16_f32_e32 v44, v14
	v_sub_u32_sdwa v14, v78, v29 dst_sel:DWORD dst_unused:UNUSED_PAD src0_sel:BYTE_1 src1_sel:DWORD
	v_cvt_f32_i32_e32 v14, v14
	v_cvt_f16_f32_e32 v45, v14
	v_sub_u32_sdwa v14, v78, v29 dst_sel:DWORD dst_unused:UNUSED_PAD src0_sel:BYTE_2 src1_sel:DWORD
	v_cvt_f32_i32_e32 v14, v14
	v_cvt_f16_f32_e32 v46, v14
	v_sub_u32_sdwa v14, v78, v29 dst_sel:DWORD dst_unused:UNUSED_PAD src0_sel:BYTE_3 src1_sel:DWORD
	v_cvt_f32_i32_e32 v14, v14
	v_cvt_f16_f32_e32 v29, v14
	v_sub_u32_sdwa v14, v51, v28 dst_sel:DWORD dst_unused:UNUSED_PAD src0_sel:BYTE_0 src1_sel:DWORD
	v_cvt_f32_i32_e32 v14, v14
	v_cvt_f16_f32_e32 v47, v14
	v_sub_u32_sdwa v14, v51, v28 dst_sel:DWORD dst_unused:UNUSED_PAD src0_sel:BYTE_1 src1_sel:DWORD
	v_cvt_f32_i32_e32 v14, v14
	v_fma_mix_f32 v75, v47, v0, 0 op_sel_hi:[1,1,0]
	v_cvt_f16_f32_e32 v48, v14
	v_sub_u32_sdwa v14, v51, v28 dst_sel:DWORD dst_unused:UNUSED_PAD src0_sel:BYTE_2 src1_sel:DWORD
	v_cvt_f32_i32_e32 v14, v14
	v_cvt_f16_f32_e32 v49, v14
	v_sub_u32_sdwa v14, v51, v28 dst_sel:DWORD dst_unused:UNUSED_PAD src0_sel:BYTE_3 src1_sel:DWORD
	v_cvt_f32_i32_e32 v14, v14
	v_cvt_f16_f32_e32 v50, v14
	v_sub_u32_sdwa v14, v79, v28 dst_sel:DWORD dst_unused:UNUSED_PAD src0_sel:BYTE_0 src1_sel:DWORD
	v_cvt_f32_i32_e32 v14, v14
	v_cvt_f16_f32_e32 v51, v14
	v_sub_u32_sdwa v14, v79, v28 dst_sel:DWORD dst_unused:UNUSED_PAD src0_sel:BYTE_1 src1_sel:DWORD
	v_cvt_f32_i32_e32 v14, v14
	v_cvt_f16_f32_e32 v52, v14
	v_sub_u32_sdwa v14, v79, v28 dst_sel:DWORD dst_unused:UNUSED_PAD src0_sel:BYTE_2 src1_sel:DWORD
	v_cvt_f32_i32_e32 v14, v14
	v_cvt_f16_f32_e32 v53, v14
	v_sub_u32_sdwa v14, v79, v28 dst_sel:DWORD dst_unused:UNUSED_PAD src0_sel:BYTE_3 src1_sel:DWORD
	v_cvt_f32_i32_e32 v14, v14
	v_cvt_f16_f32_e32 v28, v14
	v_fma_mix_f32 v14, v10, v0, 0 op_sel_hi:[1,1,0]
	s_nop 0
	v_fma_mix_f32 v14, v11, v0, v14 op_sel:[0,1,0] op_sel_hi:[1,1,0]
	s_nop 0
	v_fma_mix_f32 v14, v12, v1, v14 op_sel_hi:[1,1,0]
	s_nop 0
	v_fma_mix_f32 v14, v13, v1, v14 op_sel:[0,1,0] op_sel_hi:[1,1,0]
	s_nop 0
	;; [unrolled: 4-line block ×4, first 2 shown]
	v_fma_mixlo_f16 v14, v14, v18, 0 op_sel_hi:[0,1,0]
	v_add_f16_e32 v14, v105, v14
	v_pack_b32_f16 v15, v14, v15
	v_fma_mix_f32 v14, v30, v0, 0 op_sel_hi:[1,1,0]
	s_nop 0
	v_fma_mix_f32 v14, v41, v0, v14 op_sel:[0,1,0] op_sel_hi:[1,1,0]
	v_fma_mix_f32 v0, v48, v0, v75 op_sel:[0,1,0] op_sel_hi:[1,1,0]
	v_fma_mix_f32 v14, v42, v1, v14 op_sel_hi:[1,1,0]
	v_fma_mix_f32 v0, v49, v1, v0 op_sel_hi:[1,1,0]
	v_fma_mix_f32 v14, v43, v1, v14 op_sel:[0,1,0] op_sel_hi:[1,1,0]
	v_fma_mix_f32 v0, v50, v1, v0 op_sel:[0,1,0] op_sel_hi:[1,1,0]
	v_fma_mix_f32 v14, v44, v2, v14 op_sel_hi:[1,1,0]
	v_fma_mix_f32 v0, v51, v2, v0 op_sel_hi:[1,1,0]
	;; [unrolled: 4-line block ×3, first 2 shown]
	v_fma_mix_f32 v14, v29, v3, v14 op_sel:[0,1,0] op_sel_hi:[1,1,0]
	v_fma_mix_f32 v0, v28, v3, v0 op_sel:[0,1,0] op_sel_hi:[1,1,0]
	v_fma_mixlo_f16 v14, v14, v19, 0 op_sel_hi:[0,1,0]
	v_fma_mixlo_f16 v0, v0, v19, 0 op_sel:[0,1,0] op_sel_hi:[0,1,0]
	v_add_f16_e32 v14, v107, v14
	v_add_f16_e32 v0, v108, v0
	v_pack_b32_f16 v14, v14, v0
	ds_read_b128 v[0:3], v27 offset:304
	s_waitcnt lgkmcnt(0)
	v_fma_mix_f32 v75, v10, v0, 0 op_sel_hi:[1,1,0]
	s_nop 0
	v_fma_mix_f32 v75, v11, v0, v75 op_sel:[0,1,0] op_sel_hi:[1,1,0]
	s_nop 0
	v_fma_mix_f32 v75, v12, v1, v75 op_sel_hi:[1,1,0]
	s_nop 0
	v_fma_mix_f32 v75, v13, v1, v75 op_sel:[0,1,0] op_sel_hi:[1,1,0]
	s_nop 0
	;; [unrolled: 4-line block ×4, first 2 shown]
	v_fma_mixlo_f16 v75, v75, v18, 0 op_sel_hi:[0,1,0]
	v_add_f16_e32 v55, v55, v75
	v_fma_mix_f32 v75, v33, v0, 0 op_sel_hi:[1,1,0]
	s_nop 0
	v_fma_mix_f32 v75, v34, v0, v75 op_sel:[0,1,0] op_sel_hi:[1,1,0]
	s_nop 0
	v_fma_mix_f32 v75, v35, v1, v75 op_sel_hi:[1,1,0]
	s_nop 0
	v_fma_mix_f32 v75, v36, v1, v75 op_sel:[0,1,0] op_sel_hi:[1,1,0]
	s_nop 0
	;; [unrolled: 4-line block ×4, first 2 shown]
	v_fma_mixlo_f16 v75, v75, v18, 0 op_sel:[0,1,0] op_sel_hi:[0,1,0]
	v_add_f16_e32 v75, v94, v75
	v_pack_b32_f16 v55, v55, v75
	v_fma_mix_f32 v75, v30, v0, 0 op_sel_hi:[1,1,0]
	s_nop 0
	v_fma_mix_f32 v75, v41, v0, v75 op_sel:[0,1,0] op_sel_hi:[1,1,0]
	s_nop 0
	v_fma_mix_f32 v75, v42, v1, v75 op_sel_hi:[1,1,0]
	s_nop 0
	v_fma_mix_f32 v75, v43, v1, v75 op_sel:[0,1,0] op_sel_hi:[1,1,0]
	s_nop 0
	;; [unrolled: 4-line block ×4, first 2 shown]
	v_fma_mixlo_f16 v75, v75, v19, 0 op_sel_hi:[0,1,0]
	v_add_f16_e32 v54, v54, v75
	v_fma_mix_f32 v75, v47, v0, 0 op_sel_hi:[1,1,0]
	s_nop 0
	v_fma_mix_f32 v0, v48, v0, v75 op_sel:[0,1,0] op_sel_hi:[1,1,0]
	s_nop 0
	v_fma_mix_f32 v0, v49, v1, v0 op_sel_hi:[1,1,0]
	s_nop 0
	v_fma_mix_f32 v0, v50, v1, v0 op_sel:[0,1,0] op_sel_hi:[1,1,0]
	s_nop 0
	;; [unrolled: 4-line block ×4, first 2 shown]
	v_fma_mixlo_f16 v0, v0, v19, 0 op_sel:[0,1,0] op_sel_hi:[0,1,0]
	v_add_f16_e32 v0, v93, v0
	v_pack_b32_f16 v54, v54, v0
	ds_read_b128 v[0:3], v27 offset:560
	s_waitcnt lgkmcnt(0)
	v_fma_mix_f32 v75, v10, v0, 0 op_sel_hi:[1,1,0]
	s_nop 0
	v_fma_mix_f32 v75, v11, v0, v75 op_sel:[0,1,0] op_sel_hi:[1,1,0]
	s_nop 0
	v_fma_mix_f32 v75, v12, v1, v75 op_sel_hi:[1,1,0]
	s_nop 0
	v_fma_mix_f32 v75, v13, v1, v75 op_sel:[0,1,0] op_sel_hi:[1,1,0]
	s_nop 0
	;; [unrolled: 4-line block ×4, first 2 shown]
	v_fma_mixlo_f16 v75, v75, v18, 0 op_sel_hi:[0,1,0]
	v_add_f16_e32 v57, v57, v75
	v_fma_mix_f32 v75, v33, v0, 0 op_sel_hi:[1,1,0]
	s_nop 0
	v_fma_mix_f32 v75, v34, v0, v75 op_sel:[0,1,0] op_sel_hi:[1,1,0]
	s_nop 0
	v_fma_mix_f32 v75, v35, v1, v75 op_sel_hi:[1,1,0]
	s_nop 0
	v_fma_mix_f32 v75, v36, v1, v75 op_sel:[0,1,0] op_sel_hi:[1,1,0]
	s_nop 0
	;; [unrolled: 4-line block ×4, first 2 shown]
	v_fma_mixlo_f16 v75, v75, v18, 0 op_sel:[0,1,0] op_sel_hi:[0,1,0]
	v_add_f16_e32 v75, v92, v75
	v_pack_b32_f16 v57, v57, v75
	v_fma_mix_f32 v75, v30, v0, 0 op_sel_hi:[1,1,0]
	s_nop 0
	v_fma_mix_f32 v75, v41, v0, v75 op_sel:[0,1,0] op_sel_hi:[1,1,0]
	s_nop 0
	v_fma_mix_f32 v75, v42, v1, v75 op_sel_hi:[1,1,0]
	s_nop 0
	v_fma_mix_f32 v75, v43, v1, v75 op_sel:[0,1,0] op_sel_hi:[1,1,0]
	s_nop 0
	;; [unrolled: 4-line block ×4, first 2 shown]
	v_fma_mixlo_f16 v75, v75, v19, 0 op_sel_hi:[0,1,0]
	v_add_f16_e32 v56, v56, v75
	v_fma_mix_f32 v75, v47, v0, 0 op_sel_hi:[1,1,0]
	s_nop 0
	v_fma_mix_f32 v0, v48, v0, v75 op_sel:[0,1,0] op_sel_hi:[1,1,0]
	s_nop 0
	v_fma_mix_f32 v0, v49, v1, v0 op_sel_hi:[1,1,0]
	s_nop 0
	v_fma_mix_f32 v0, v50, v1, v0 op_sel:[0,1,0] op_sel_hi:[1,1,0]
	s_nop 0
	;; [unrolled: 4-line block ×4, first 2 shown]
	v_fma_mixlo_f16 v0, v0, v19, 0 op_sel:[0,1,0] op_sel_hi:[0,1,0]
	v_add_f16_e32 v0, v74, v0
	v_pack_b32_f16 v56, v56, v0
	ds_read_b128 v[0:3], v27 offset:816
	s_waitcnt lgkmcnt(0)
	v_fma_mix_f32 v74, v10, v0, 0 op_sel_hi:[1,1,0]
	s_nop 0
	v_fma_mix_f32 v74, v11, v0, v74 op_sel:[0,1,0] op_sel_hi:[1,1,0]
	s_nop 0
	v_fma_mix_f32 v74, v12, v1, v74 op_sel_hi:[1,1,0]
	s_nop 0
	v_fma_mix_f32 v74, v13, v1, v74 op_sel:[0,1,0] op_sel_hi:[1,1,0]
	s_nop 0
	;; [unrolled: 4-line block ×4, first 2 shown]
	v_fma_mixlo_f16 v74, v74, v18, 0 op_sel_hi:[0,1,0]
	v_add_f16_e32 v59, v59, v74
	v_fma_mix_f32 v74, v33, v0, 0 op_sel_hi:[1,1,0]
	s_nop 0
	v_fma_mix_f32 v74, v34, v0, v74 op_sel:[0,1,0] op_sel_hi:[1,1,0]
	s_nop 0
	v_fma_mix_f32 v74, v35, v1, v74 op_sel_hi:[1,1,0]
	s_nop 0
	v_fma_mix_f32 v74, v36, v1, v74 op_sel:[0,1,0] op_sel_hi:[1,1,0]
	s_nop 0
	;; [unrolled: 4-line block ×4, first 2 shown]
	v_fma_mixlo_f16 v74, v74, v18, 0 op_sel:[0,1,0] op_sel_hi:[0,1,0]
	v_add_f16_e32 v73, v73, v74
	v_pack_b32_f16 v59, v59, v73
	v_fma_mix_f32 v73, v30, v0, 0 op_sel_hi:[1,1,0]
	s_nop 0
	v_fma_mix_f32 v73, v41, v0, v73 op_sel:[0,1,0] op_sel_hi:[1,1,0]
	s_nop 0
	v_fma_mix_f32 v73, v42, v1, v73 op_sel_hi:[1,1,0]
	s_nop 0
	v_fma_mix_f32 v73, v43, v1, v73 op_sel:[0,1,0] op_sel_hi:[1,1,0]
	s_nop 0
	;; [unrolled: 4-line block ×4, first 2 shown]
	v_fma_mixlo_f16 v73, v73, v19, 0 op_sel_hi:[0,1,0]
	v_add_f16_e32 v58, v58, v73
	v_fma_mix_f32 v73, v47, v0, 0 op_sel_hi:[1,1,0]
	s_nop 0
	v_fma_mix_f32 v0, v48, v0, v73 op_sel:[0,1,0] op_sel_hi:[1,1,0]
	s_nop 0
	v_fma_mix_f32 v0, v49, v1, v0 op_sel_hi:[1,1,0]
	s_nop 0
	v_fma_mix_f32 v0, v50, v1, v0 op_sel:[0,1,0] op_sel_hi:[1,1,0]
	s_nop 0
	;; [unrolled: 4-line block ×4, first 2 shown]
	v_fma_mixlo_f16 v0, v0, v19, 0 op_sel:[0,1,0] op_sel_hi:[0,1,0]
	v_add_f16_e32 v0, v72, v0
	v_pack_b32_f16 v58, v58, v0
	ds_read_b128 v[0:3], v27 offset:1072
	s_waitcnt lgkmcnt(0)
	v_fma_mix_f32 v72, v10, v0, 0 op_sel_hi:[1,1,0]
	s_nop 0
	v_fma_mix_f32 v72, v11, v0, v72 op_sel:[0,1,0] op_sel_hi:[1,1,0]
	s_nop 0
	v_fma_mix_f32 v72, v12, v1, v72 op_sel_hi:[1,1,0]
	s_nop 0
	v_fma_mix_f32 v72, v13, v1, v72 op_sel:[0,1,0] op_sel_hi:[1,1,0]
	s_nop 0
	v_fma_mix_f32 v72, v20, v2, v72 op_sel_hi:[1,1,0]
	s_nop 0
	v_fma_mix_f32 v72, v21, v2, v72 op_sel:[0,1,0] op_sel_hi:[1,1,0]
	s_nop 0
	v_fma_mix_f32 v72, v32, v3, v72 op_sel_hi:[1,1,0]
	s_nop 0
	v_fma_mix_f32 v72, v31, v3, v72 op_sel:[0,1,0] op_sel_hi:[1,1,0]
	s_nop 0
	v_fma_mixlo_f16 v72, v72, v18, 0 op_sel_hi:[0,1,0]
	v_add_f16_e32 v61, v61, v72
	v_fma_mix_f32 v72, v33, v0, 0 op_sel_hi:[1,1,0]
	s_nop 0
	v_fma_mix_f32 v72, v34, v0, v72 op_sel:[0,1,0] op_sel_hi:[1,1,0]
	s_nop 0
	v_fma_mix_f32 v72, v35, v1, v72 op_sel_hi:[1,1,0]
	s_nop 0
	v_fma_mix_f32 v72, v36, v1, v72 op_sel:[0,1,0] op_sel_hi:[1,1,0]
	s_nop 0
	;; [unrolled: 4-line block ×4, first 2 shown]
	v_fma_mixlo_f16 v72, v72, v18, 0 op_sel:[0,1,0] op_sel_hi:[0,1,0]
	v_add_f16_e32 v71, v71, v72
	v_pack_b32_f16 v61, v61, v71
	v_fma_mix_f32 v71, v30, v0, 0 op_sel_hi:[1,1,0]
	s_nop 0
	v_fma_mix_f32 v71, v41, v0, v71 op_sel:[0,1,0] op_sel_hi:[1,1,0]
	s_nop 0
	v_fma_mix_f32 v71, v42, v1, v71 op_sel_hi:[1,1,0]
	s_nop 0
	v_fma_mix_f32 v71, v43, v1, v71 op_sel:[0,1,0] op_sel_hi:[1,1,0]
	s_nop 0
	;; [unrolled: 4-line block ×4, first 2 shown]
	v_fma_mixlo_f16 v71, v71, v19, 0 op_sel_hi:[0,1,0]
	v_add_f16_e32 v60, v60, v71
	v_fma_mix_f32 v71, v47, v0, 0 op_sel_hi:[1,1,0]
	s_nop 0
	v_fma_mix_f32 v0, v48, v0, v71 op_sel:[0,1,0] op_sel_hi:[1,1,0]
	s_nop 0
	v_fma_mix_f32 v0, v49, v1, v0 op_sel_hi:[1,1,0]
	s_nop 0
	v_fma_mix_f32 v0, v50, v1, v0 op_sel:[0,1,0] op_sel_hi:[1,1,0]
	s_nop 0
	;; [unrolled: 4-line block ×4, first 2 shown]
	v_fma_mixlo_f16 v0, v0, v19, 0 op_sel:[0,1,0] op_sel_hi:[0,1,0]
	v_add_f16_e32 v0, v70, v0
	v_pack_b32_f16 v60, v60, v0
	ds_read_b128 v[0:3], v27 offset:1328
	s_waitcnt lgkmcnt(0)
	v_fma_mix_f32 v70, v10, v0, 0 op_sel_hi:[1,1,0]
	s_nop 0
	v_fma_mix_f32 v70, v11, v0, v70 op_sel:[0,1,0] op_sel_hi:[1,1,0]
	s_nop 0
	v_fma_mix_f32 v70, v12, v1, v70 op_sel_hi:[1,1,0]
	s_nop 0
	v_fma_mix_f32 v70, v13, v1, v70 op_sel:[0,1,0] op_sel_hi:[1,1,0]
	s_nop 0
	;; [unrolled: 4-line block ×4, first 2 shown]
	v_fma_mixlo_f16 v70, v70, v18, 0 op_sel_hi:[0,1,0]
	v_add_f16_e32 v63, v63, v70
	v_fma_mix_f32 v70, v33, v0, 0 op_sel_hi:[1,1,0]
	s_nop 0
	v_fma_mix_f32 v70, v34, v0, v70 op_sel:[0,1,0] op_sel_hi:[1,1,0]
	s_nop 0
	v_fma_mix_f32 v70, v35, v1, v70 op_sel_hi:[1,1,0]
	s_nop 0
	v_fma_mix_f32 v70, v36, v1, v70 op_sel:[0,1,0] op_sel_hi:[1,1,0]
	s_nop 0
	;; [unrolled: 4-line block ×4, first 2 shown]
	v_fma_mixlo_f16 v70, v70, v18, 0 op_sel:[0,1,0] op_sel_hi:[0,1,0]
	v_add_f16_e32 v69, v69, v70
	v_pack_b32_f16 v63, v63, v69
	v_fma_mix_f32 v69, v30, v0, 0 op_sel_hi:[1,1,0]
	s_nop 0
	v_fma_mix_f32 v69, v41, v0, v69 op_sel:[0,1,0] op_sel_hi:[1,1,0]
	s_nop 0
	v_fma_mix_f32 v69, v42, v1, v69 op_sel_hi:[1,1,0]
	s_nop 0
	v_fma_mix_f32 v69, v43, v1, v69 op_sel:[0,1,0] op_sel_hi:[1,1,0]
	s_nop 0
	v_fma_mix_f32 v69, v44, v2, v69 op_sel_hi:[1,1,0]
	s_nop 0
	v_fma_mix_f32 v69, v45, v2, v69 op_sel:[0,1,0] op_sel_hi:[1,1,0]
	s_nop 0
	v_fma_mix_f32 v69, v46, v3, v69 op_sel_hi:[1,1,0]
	s_nop 0
	v_fma_mix_f32 v69, v29, v3, v69 op_sel:[0,1,0] op_sel_hi:[1,1,0]
	s_nop 0
	v_fma_mixlo_f16 v69, v69, v19, 0 op_sel_hi:[0,1,0]
	v_add_f16_e32 v62, v62, v69
	v_fma_mix_f32 v69, v47, v0, 0 op_sel_hi:[1,1,0]
	s_nop 0
	v_fma_mix_f32 v0, v48, v0, v69 op_sel:[0,1,0] op_sel_hi:[1,1,0]
	s_nop 0
	v_fma_mix_f32 v0, v49, v1, v0 op_sel_hi:[1,1,0]
	s_nop 0
	v_fma_mix_f32 v0, v50, v1, v0 op_sel:[0,1,0] op_sel_hi:[1,1,0]
	s_nop 0
	;; [unrolled: 4-line block ×4, first 2 shown]
	v_fma_mixlo_f16 v0, v0, v19, 0 op_sel:[0,1,0] op_sel_hi:[0,1,0]
	v_add_f16_e32 v0, v68, v0
	v_pack_b32_f16 v62, v62, v0
	ds_read_b128 v[0:3], v27 offset:1584
	s_waitcnt lgkmcnt(0)
	v_fma_mix_f32 v68, v10, v0, 0 op_sel_hi:[1,1,0]
	s_nop 0
	v_fma_mix_f32 v68, v11, v0, v68 op_sel:[0,1,0] op_sel_hi:[1,1,0]
	s_nop 0
	v_fma_mix_f32 v68, v12, v1, v68 op_sel_hi:[1,1,0]
	s_nop 0
	v_fma_mix_f32 v68, v13, v1, v68 op_sel:[0,1,0] op_sel_hi:[1,1,0]
	s_nop 0
	;; [unrolled: 4-line block ×4, first 2 shown]
	v_fma_mixlo_f16 v68, v68, v18, 0 op_sel_hi:[0,1,0]
	v_add_f16_e32 v65, v65, v68
	v_fma_mix_f32 v68, v33, v0, 0 op_sel_hi:[1,1,0]
	s_nop 0
	v_fma_mix_f32 v68, v34, v0, v68 op_sel:[0,1,0] op_sel_hi:[1,1,0]
	s_nop 0
	v_fma_mix_f32 v68, v35, v1, v68 op_sel_hi:[1,1,0]
	s_nop 0
	v_fma_mix_f32 v68, v36, v1, v68 op_sel:[0,1,0] op_sel_hi:[1,1,0]
	s_nop 0
	;; [unrolled: 4-line block ×4, first 2 shown]
	v_fma_mixlo_f16 v68, v68, v18, 0 op_sel:[0,1,0] op_sel_hi:[0,1,0]
	v_add_f16_e32 v67, v67, v68
	v_pack_b32_f16 v65, v65, v67
	v_fma_mix_f32 v67, v30, v0, 0 op_sel_hi:[1,1,0]
	s_nop 0
	v_fma_mix_f32 v67, v41, v0, v67 op_sel:[0,1,0] op_sel_hi:[1,1,0]
	s_nop 0
	v_fma_mix_f32 v67, v42, v1, v67 op_sel_hi:[1,1,0]
	s_nop 0
	v_fma_mix_f32 v67, v43, v1, v67 op_sel:[0,1,0] op_sel_hi:[1,1,0]
	s_nop 0
	v_fma_mix_f32 v67, v44, v2, v67 op_sel_hi:[1,1,0]
	s_nop 0
	v_fma_mix_f32 v67, v45, v2, v67 op_sel:[0,1,0] op_sel_hi:[1,1,0]
	s_nop 0
	v_fma_mix_f32 v67, v46, v3, v67 op_sel_hi:[1,1,0]
	s_nop 0
	v_fma_mix_f32 v67, v29, v3, v67 op_sel:[0,1,0] op_sel_hi:[1,1,0]
	s_nop 0
	v_fma_mixlo_f16 v67, v67, v19, 0 op_sel_hi:[0,1,0]
	v_add_f16_e32 v64, v64, v67
	v_fma_mix_f32 v67, v47, v0, 0 op_sel_hi:[1,1,0]
	s_nop 0
	v_fma_mix_f32 v0, v48, v0, v67 op_sel:[0,1,0] op_sel_hi:[1,1,0]
	s_nop 0
	v_fma_mix_f32 v0, v49, v1, v0 op_sel_hi:[1,1,0]
	s_nop 0
	v_fma_mix_f32 v0, v50, v1, v0 op_sel:[0,1,0] op_sel_hi:[1,1,0]
	s_nop 0
	v_fma_mix_f32 v0, v51, v2, v0 op_sel_hi:[1,1,0]
	s_nop 0
	v_fma_mix_f32 v0, v52, v2, v0 op_sel:[0,1,0] op_sel_hi:[1,1,0]
	s_nop 0
	v_fma_mix_f32 v0, v53, v3, v0 op_sel_hi:[1,1,0]
	s_nop 0
	v_fma_mix_f32 v0, v28, v3, v0 op_sel:[0,1,0] op_sel_hi:[1,1,0]
	s_nop 0
	v_fma_mixlo_f16 v0, v0, v19, 0 op_sel:[0,1,0] op_sel_hi:[0,1,0]
	v_add_f16_e32 v0, v66, v0
	v_pack_b32_f16 v64, v64, v0
	ds_read_b128 v[0:3], v27 offset:1840
	s_waitcnt lgkmcnt(0)
	v_fma_mix_f32 v10, v10, v0, 0 op_sel_hi:[1,1,0]
	s_nop 0
	v_fma_mix_f32 v10, v11, v0, v10 op_sel:[0,1,0] op_sel_hi:[1,1,0]
	s_nop 0
	v_fma_mix_f32 v10, v12, v1, v10 op_sel_hi:[1,1,0]
	s_nop 0
	v_fma_mix_f32 v10, v13, v1, v10 op_sel:[0,1,0] op_sel_hi:[1,1,0]
	s_nop 0
	v_fma_mix_f32 v10, v20, v2, v10 op_sel_hi:[1,1,0]
	s_nop 0
	v_fma_mix_f32 v10, v21, v2, v10 op_sel:[0,1,0] op_sel_hi:[1,1,0]
	s_nop 0
	v_fma_mix_f32 v10, v32, v3, v10 op_sel_hi:[1,1,0]
	s_nop 0
	v_fma_mix_f32 v10, v31, v3, v10 op_sel:[0,1,0] op_sel_hi:[1,1,0]
	s_nop 0
	v_fma_mixlo_f16 v10, v10, v18, 0 op_sel_hi:[0,1,0]
	v_add_f16_e32 v8, v8, v10
	v_fma_mix_f32 v10, v33, v0, 0 op_sel_hi:[1,1,0]
	s_nop 0
	v_fma_mix_f32 v10, v34, v0, v10 op_sel:[0,1,0] op_sel_hi:[1,1,0]
	s_nop 0
	v_fma_mix_f32 v10, v35, v1, v10 op_sel_hi:[1,1,0]
	s_nop 0
	v_fma_mix_f32 v10, v36, v1, v10 op_sel:[0,1,0] op_sel_hi:[1,1,0]
	s_nop 0
	;; [unrolled: 4-line block ×4, first 2 shown]
	v_fma_mixlo_f16 v10, v10, v18, 0 op_sel:[0,1,0] op_sel_hi:[0,1,0]
	v_add_f16_e32 v9, v9, v10
	v_pack_b32_f16 v20, v8, v9
	v_fma_mix_f32 v8, v30, v0, 0 op_sel_hi:[1,1,0]
	s_nop 0
	v_fma_mix_f32 v8, v41, v0, v8 op_sel:[0,1,0] op_sel_hi:[1,1,0]
	s_nop 0
	v_fma_mix_f32 v8, v42, v1, v8 op_sel_hi:[1,1,0]
	s_nop 0
	v_fma_mix_f32 v8, v43, v1, v8 op_sel:[0,1,0] op_sel_hi:[1,1,0]
	s_nop 0
	;; [unrolled: 4-line block ×4, first 2 shown]
	v_fma_mixlo_f16 v8, v8, v19, 0 op_sel_hi:[0,1,0]
	v_add_f16_e32 v6, v6, v8
	v_fma_mix_f32 v8, v47, v0, 0 op_sel_hi:[1,1,0]
	s_nop 0
	v_fma_mix_f32 v0, v48, v0, v8 op_sel:[0,1,0] op_sel_hi:[1,1,0]
	s_nop 0
	v_fma_mix_f32 v0, v49, v1, v0 op_sel_hi:[1,1,0]
	s_nop 0
	v_fma_mix_f32 v0, v50, v1, v0 op_sel:[0,1,0] op_sel_hi:[1,1,0]
	s_nop 0
	;; [unrolled: 4-line block ×4, first 2 shown]
	v_fma_mixlo_f16 v0, v0, v19, 0 op_sel:[0,1,0] op_sel_hi:[0,1,0]
	v_add_f16_e32 v0, v7, v0
	v_pack_b32_f16 v32, v6, v0
	v_lshl_add_u64 v[0:1], v[4:5], 0, s[0:1]
	s_cbranch_scc1 .LBB46_24
.LBB46_22:                              ; =>This Inner Loop Header: Depth=1
	s_cmp_lg_u32 s24, s6
	s_cbranch_scc1 .LBB46_21
; %bb.23:                               ;   in Loop: Header=BB46_22 Depth=1
	s_add_i32 s5, s5, 1
	s_mul_i32 s7, s5, s16
	s_ashr_i32 s8, s7, 31
	s_lshr_b32 s8, s8, 30
	s_add_i32 s8, s7, s8
	s_ashr_i32 s8, s8, 2
	v_add_u32_e32 v2, s8, v22
	v_ashrrev_i32_e32 v3, 31, v2
	v_lshl_add_u64 v[2:3], v[2:3], 2, s[10:11]
	global_load_dword v4, v[2:3], off
	v_add_u32_e32 v2, s7, v16
	v_ashrrev_i32_e32 v3, 31, v2
	v_lshl_add_u64 v[2:3], v[2:3], 1, s[12:13]
	global_load_dwordx2 v[18:19], v[2:3], off
	s_add_i32 s6, s6, s4
	s_waitcnt vmcnt(1)
	v_and_b32_e32 v17, 0xff, v4
	v_bfe_u32 v24, v4, 8, 8
	v_bfe_u32 v25, v4, 16, 8
	v_lshrrev_b32_e32 v26, 24, v4
	s_branch .LBB46_21
.LBB46_24:
	s_mul_i32 s3, s3, s16
	v_add_u32_e32 v0, s3, v16
	v_ashrrev_i32_e32 v1, 31, v0
	v_lshl_add_u64 v[2:3], v[0:1], 1, s[14:15]
	global_load_dword v5, v[2:3], off
	s_mov_b64 s[0:1], 0
.LBB46_25:                              ; =>This Inner Loop Header: Depth=1
	s_waitcnt vmcnt(0)
	v_pk_add_f16 v4, v15, v5
	global_atomic_cmpswap v1, v[2:3], v[4:5], off sc0
	s_waitcnt vmcnt(0)
	v_cmp_eq_u32_e32 vcc, v5, v1
	s_or_b64 s[0:1], vcc, s[0:1]
	v_mov_b32_e32 v5, v1
	s_andn2_b64 exec, exec, s[0:1]
	s_cbranch_execnz .LBB46_25
; %bb.26:
	s_or_b64 exec, exec, s[0:1]
	global_load_dword v5, v[2:3], off offset:4
	s_mov_b64 s[0:1], 0
.LBB46_27:                              ; =>This Inner Loop Header: Depth=1
	s_waitcnt vmcnt(0)
	v_pk_add_f16 v4, v14, v5
	global_atomic_cmpswap v1, v[2:3], v[4:5], off offset:4 sc0
	s_waitcnt vmcnt(0)
	v_cmp_eq_u32_e32 vcc, v5, v1
	s_or_b64 s[0:1], vcc, s[0:1]
	v_mov_b32_e32 v5, v1
	s_andn2_b64 exec, exec, s[0:1]
	s_cbranch_execnz .LBB46_27
; %bb.28:
	s_or_b64 exec, exec, s[0:1]
	v_add_u32_e32 v0, s16, v0
	v_ashrrev_i32_e32 v1, 31, v0
	v_lshl_add_u64 v[2:3], v[0:1], 1, s[14:15]
	global_load_dword v5, v[2:3], off
	s_mov_b64 s[0:1], 0
.LBB46_29:                              ; =>This Inner Loop Header: Depth=1
	s_waitcnt vmcnt(0)
	v_pk_add_f16 v4, v55, v5
	global_atomic_cmpswap v1, v[2:3], v[4:5], off sc0
	s_waitcnt vmcnt(0)
	v_cmp_eq_u32_e32 vcc, v5, v1
	s_or_b64 s[0:1], vcc, s[0:1]
	v_mov_b32_e32 v5, v1
	s_andn2_b64 exec, exec, s[0:1]
	s_cbranch_execnz .LBB46_29
; %bb.30:
	s_or_b64 exec, exec, s[0:1]
	global_load_dword v5, v[2:3], off offset:4
	s_mov_b64 s[0:1], 0
.LBB46_31:                              ; =>This Inner Loop Header: Depth=1
	s_waitcnt vmcnt(0)
	v_pk_add_f16 v4, v54, v5
	global_atomic_cmpswap v1, v[2:3], v[4:5], off offset:4 sc0
	s_waitcnt vmcnt(0)
	v_cmp_eq_u32_e32 vcc, v5, v1
	s_or_b64 s[0:1], vcc, s[0:1]
	v_mov_b32_e32 v5, v1
	s_andn2_b64 exec, exec, s[0:1]
	s_cbranch_execnz .LBB46_31
; %bb.32:
	s_or_b64 exec, exec, s[0:1]
	;; [unrolled: 31-line block ×7, first 2 shown]
	v_add_u32_e32 v0, s16, v0
	v_ashrrev_i32_e32 v1, 31, v0
	v_lshl_add_u64 v[0:1], v[0:1], 1, s[14:15]
	global_load_dword v3, v[0:1], off
	s_mov_b64 s[0:1], 0
.LBB46_53:                              ; =>This Inner Loop Header: Depth=1
	s_waitcnt vmcnt(0)
	v_pk_add_f16 v2, v20, v3
	global_atomic_cmpswap v2, v[0:1], v[2:3], off sc0
	s_waitcnt vmcnt(0)
	v_cmp_eq_u32_e32 vcc, v3, v2
	s_or_b64 s[0:1], vcc, s[0:1]
	v_mov_b32_e32 v3, v2
	s_andn2_b64 exec, exec, s[0:1]
	s_cbranch_execnz .LBB46_53
; %bb.54:
	s_or_b64 exec, exec, s[0:1]
	global_load_dword v3, v[0:1], off offset:4
	s_mov_b64 s[0:1], 0
.LBB46_55:                              ; =>This Inner Loop Header: Depth=1
	s_waitcnt vmcnt(0)
	v_pk_add_f16 v2, v32, v3
	global_atomic_cmpswap v2, v[0:1], v[2:3], off offset:4 sc0
	s_waitcnt vmcnt(0)
	v_cmp_eq_u32_e32 vcc, v3, v2
	s_or_b64 s[0:1], vcc, s[0:1]
	v_mov_b32_e32 v3, v2
	s_andn2_b64 exec, exec, s[0:1]
	s_cbranch_execnz .LBB46_55
.LBB46_56:
	s_endpgm
	.section	.rodata,"a",@progbits
	.p2align	6, 0x0
	.amdhsa_kernel _ZN4vllm4gptq33gemm_half_q_half_gptq_8bit_kernelILb1ELi8EEEvPK6__halfPKjS6_S4_PS2_iiiibPKi
		.amdhsa_group_segment_fixed_size 2048
		.amdhsa_private_segment_fixed_size 0
		.amdhsa_kernarg_size 72
		.amdhsa_user_sgpr_count 2
		.amdhsa_user_sgpr_dispatch_ptr 0
		.amdhsa_user_sgpr_queue_ptr 0
		.amdhsa_user_sgpr_kernarg_segment_ptr 1
		.amdhsa_user_sgpr_dispatch_id 0
		.amdhsa_user_sgpr_kernarg_preload_length 0
		.amdhsa_user_sgpr_kernarg_preload_offset 0
		.amdhsa_user_sgpr_private_segment_size 0
		.amdhsa_uses_dynamic_stack 0
		.amdhsa_enable_private_segment 0
		.amdhsa_system_sgpr_workgroup_id_x 1
		.amdhsa_system_sgpr_workgroup_id_y 1
		.amdhsa_system_sgpr_workgroup_id_z 1
		.amdhsa_system_sgpr_workgroup_info 0
		.amdhsa_system_vgpr_workitem_id 0
		.amdhsa_next_free_vgpr 109
		.amdhsa_next_free_sgpr 26
		.amdhsa_accum_offset 112
		.amdhsa_reserve_vcc 1
		.amdhsa_float_round_mode_32 0
		.amdhsa_float_round_mode_16_64 0
		.amdhsa_float_denorm_mode_32 3
		.amdhsa_float_denorm_mode_16_64 3
		.amdhsa_dx10_clamp 1
		.amdhsa_ieee_mode 1
		.amdhsa_fp16_overflow 0
		.amdhsa_tg_split 0
		.amdhsa_exception_fp_ieee_invalid_op 0
		.amdhsa_exception_fp_denorm_src 0
		.amdhsa_exception_fp_ieee_div_zero 0
		.amdhsa_exception_fp_ieee_overflow 0
		.amdhsa_exception_fp_ieee_underflow 0
		.amdhsa_exception_fp_ieee_inexact 0
		.amdhsa_exception_int_div_zero 0
	.end_amdhsa_kernel
	.section	.text._ZN4vllm4gptq33gemm_half_q_half_gptq_8bit_kernelILb1ELi8EEEvPK6__halfPKjS6_S4_PS2_iiiibPKi,"axG",@progbits,_ZN4vllm4gptq33gemm_half_q_half_gptq_8bit_kernelILb1ELi8EEEvPK6__halfPKjS6_S4_PS2_iiiibPKi,comdat
.Lfunc_end46:
	.size	_ZN4vllm4gptq33gemm_half_q_half_gptq_8bit_kernelILb1ELi8EEEvPK6__halfPKjS6_S4_PS2_iiiibPKi, .Lfunc_end46-_ZN4vllm4gptq33gemm_half_q_half_gptq_8bit_kernelILb1ELi8EEEvPK6__halfPKjS6_S4_PS2_iiiibPKi
                                        ; -- End function
	.set _ZN4vllm4gptq33gemm_half_q_half_gptq_8bit_kernelILb1ELi8EEEvPK6__halfPKjS6_S4_PS2_iiiibPKi.num_vgpr, 109
	.set _ZN4vllm4gptq33gemm_half_q_half_gptq_8bit_kernelILb1ELi8EEEvPK6__halfPKjS6_S4_PS2_iiiibPKi.num_agpr, 0
	.set _ZN4vllm4gptq33gemm_half_q_half_gptq_8bit_kernelILb1ELi8EEEvPK6__halfPKjS6_S4_PS2_iiiibPKi.numbered_sgpr, 26
	.set _ZN4vllm4gptq33gemm_half_q_half_gptq_8bit_kernelILb1ELi8EEEvPK6__halfPKjS6_S4_PS2_iiiibPKi.num_named_barrier, 0
	.set _ZN4vllm4gptq33gemm_half_q_half_gptq_8bit_kernelILb1ELi8EEEvPK6__halfPKjS6_S4_PS2_iiiibPKi.private_seg_size, 0
	.set _ZN4vllm4gptq33gemm_half_q_half_gptq_8bit_kernelILb1ELi8EEEvPK6__halfPKjS6_S4_PS2_iiiibPKi.uses_vcc, 1
	.set _ZN4vllm4gptq33gemm_half_q_half_gptq_8bit_kernelILb1ELi8EEEvPK6__halfPKjS6_S4_PS2_iiiibPKi.uses_flat_scratch, 0
	.set _ZN4vllm4gptq33gemm_half_q_half_gptq_8bit_kernelILb1ELi8EEEvPK6__halfPKjS6_S4_PS2_iiiibPKi.has_dyn_sized_stack, 0
	.set _ZN4vllm4gptq33gemm_half_q_half_gptq_8bit_kernelILb1ELi8EEEvPK6__halfPKjS6_S4_PS2_iiiibPKi.has_recursion, 0
	.set _ZN4vllm4gptq33gemm_half_q_half_gptq_8bit_kernelILb1ELi8EEEvPK6__halfPKjS6_S4_PS2_iiiibPKi.has_indirect_call, 0
	.section	.AMDGPU.csdata,"",@progbits
; Kernel info:
; codeLenInByte = 18924
; TotalNumSgprs: 32
; NumVgprs: 109
; NumAgprs: 0
; TotalNumVgprs: 109
; ScratchSize: 0
; MemoryBound: 0
; FloatMode: 240
; IeeeMode: 1
; LDSByteSize: 2048 bytes/workgroup (compile time only)
; SGPRBlocks: 3
; VGPRBlocks: 13
; NumSGPRsForWavesPerEU: 32
; NumVGPRsForWavesPerEU: 109
; AccumOffset: 112
; Occupancy: 4
; WaveLimiterHint : 0
; COMPUTE_PGM_RSRC2:SCRATCH_EN: 0
; COMPUTE_PGM_RSRC2:USER_SGPR: 2
; COMPUTE_PGM_RSRC2:TRAP_HANDLER: 0
; COMPUTE_PGM_RSRC2:TGID_X_EN: 1
; COMPUTE_PGM_RSRC2:TGID_Y_EN: 1
; COMPUTE_PGM_RSRC2:TGID_Z_EN: 1
; COMPUTE_PGM_RSRC2:TIDIG_COMP_CNT: 0
; COMPUTE_PGM_RSRC3_GFX90A:ACCUM_OFFSET: 27
; COMPUTE_PGM_RSRC3_GFX90A:TG_SPLIT: 0
	.section	.text._ZN4vllm4gptq23reconstruct_gptq_kernelINS0_17MatrixView_q4_rowELi4EEEvPKjPK6__halfS4_PKiiiibPS5_,"axG",@progbits,_ZN4vllm4gptq23reconstruct_gptq_kernelINS0_17MatrixView_q4_rowELi4EEEvPKjPK6__halfS4_PKiiiibPS5_,comdat
	.protected	_ZN4vllm4gptq23reconstruct_gptq_kernelINS0_17MatrixView_q4_rowELi4EEEvPKjPK6__halfS4_PKiiiibPS5_ ; -- Begin function _ZN4vllm4gptq23reconstruct_gptq_kernelINS0_17MatrixView_q4_rowELi4EEEvPKjPK6__halfS4_PKiiiibPS5_
	.globl	_ZN4vllm4gptq23reconstruct_gptq_kernelINS0_17MatrixView_q4_rowELi4EEEvPKjPK6__halfS4_PKiiiibPS5_
	.p2align	8
	.type	_ZN4vllm4gptq23reconstruct_gptq_kernelINS0_17MatrixView_q4_rowELi4EEEvPKjPK6__halfS4_PKiiiibPS5_,@function
_ZN4vllm4gptq23reconstruct_gptq_kernelINS0_17MatrixView_q4_rowELi4EEEvPKjPK6__halfS4_PKiiiibPS5_: ; @_ZN4vllm4gptq23reconstruct_gptq_kernelINS0_17MatrixView_q4_rowELi4EEEvPKjPK6__halfS4_PKiiiibPS5_
; %bb.0:
	s_load_dword s20, s[0:1], 0x24
	v_lshl_add_u32 v2, s2, 7, v0
	s_waitcnt lgkmcnt(0)
	v_cmp_gt_u32_e32 vcc, s20, v2
	s_and_saveexec_b64 s[4:5], vcc
	s_cbranch_execz .LBB47_2
; %bb.1:
	s_load_dword s2, s[0:1], 0x2c
	s_load_dwordx8 s[4:11], s[0:1], 0x0
	s_mul_i32 s12, s20, s3
	v_add_u32_e32 v4, s12, v2
	v_mov_b32_e32 v5, 0
	s_waitcnt lgkmcnt(0)
	s_bitcmp1_b32 s2, 0
	s_cselect_b64 s[22:23], -1, 0
	s_lshl_b32 s2, s3, 5
	s_load_dwordx8 s[12:19], s[10:11], s2 offset:0x0
	v_lshl_add_u64 v[4:5], v[4:5], 2, s[4:5]
	v_ashrrev_i32_e32 v3, 31, v2
	global_load_dword v1, v[4:5], off
	v_lshrrev_b32_e32 v3, 29, v3
	s_waitcnt lgkmcnt(0)
	s_mul_i32 s2, s12, s20
	s_mul_i32 s4, s13, s20
	s_ashr_i32 s5, s2, 31
	v_add_u32_e32 v4, s4, v2
	v_add_u32_e32 v6, s2, v2
	s_lshr_b32 s5, s5, 29
	v_add_u32_e32 v3, v2, v3
	v_ashrrev_i32_e32 v7, 31, v6
	s_add_i32 s2, s2, s5
	v_ashrrev_i32_e32 v5, 31, v4
	v_ashrrev_i32_e32 v3, 3, v3
	v_lshl_add_u64 v[6:7], v[6:7], 1, s[6:7]
	s_ashr_i32 s2, s2, 3
	v_lshl_add_u64 v[4:5], v[4:5], 1, s[6:7]
	global_load_ushort v8, v[6:7], off
	global_load_ushort v10, v[4:5], off
	v_add_u32_e32 v6, s2, v3
	s_ashr_i32 s2, s4, 31
	v_ashrrev_i32_e32 v7, 31, v6
	s_lshr_b32 s2, s2, 29
	v_lshl_add_u64 v[6:7], v[6:7], 2, s[8:9]
	s_add_i32 s4, s4, s2
	global_load_dword v9, v[6:7], off
	s_ashr_i32 s2, s4, 3
	v_add_u32_e32 v4, s2, v3
	v_ashrrev_i32_e32 v5, 31, v4
	s_mul_i32 s2, s14, s20
	v_lshl_add_u64 v[4:5], v[4:5], 2, s[8:9]
	s_mul_i32 s4, s15, s20
	s_ashr_i32 s5, s2, 31
	global_load_dword v11, v[4:5], off
	v_add_u32_e32 v4, s4, v2
	v_add_u32_e32 v6, s2, v2
	s_lshr_b32 s5, s5, 29
	v_ashrrev_i32_e32 v7, 31, v6
	s_add_i32 s2, s2, s5
	v_ashrrev_i32_e32 v5, 31, v4
	v_lshl_add_u64 v[6:7], v[6:7], 1, s[6:7]
	s_ashr_i32 s2, s2, 3
	v_lshl_add_u64 v[4:5], v[4:5], 1, s[6:7]
	global_load_ushort v12, v[6:7], off
	global_load_ushort v14, v[4:5], off
	v_add_u32_e32 v6, s2, v3
	s_ashr_i32 s2, s4, 31
	s_lshr_b32 s2, s2, 29
	s_add_i32 s4, s4, s2
	v_ashrrev_i32_e32 v7, 31, v6
	s_ashr_i32 s2, s4, 3
	v_lshl_add_u64 v[6:7], v[6:7], 2, s[8:9]
	v_add_u32_e32 v4, s2, v3
	global_load_dword v13, v[6:7], off
	v_ashrrev_i32_e32 v5, 31, v4
	v_lshl_add_u64 v[4:5], v[4:5], 2, s[8:9]
	global_load_dword v15, v[4:5], off
	s_mul_i32 s2, s16, s20
	s_mul_i32 s4, s17, s20
	s_ashr_i32 s5, s2, 31
	v_add_u32_e32 v4, s4, v2
	v_add_u32_e32 v6, s2, v2
	s_lshr_b32 s5, s5, 29
	v_ashrrev_i32_e32 v7, 31, v6
	s_add_i32 s2, s2, s5
	v_ashrrev_i32_e32 v5, 31, v4
	v_lshl_add_u64 v[6:7], v[6:7], 1, s[6:7]
	s_ashr_i32 s2, s2, 3
	v_lshl_add_u64 v[4:5], v[4:5], 1, s[6:7]
	global_load_ushort v16, v[6:7], off
	global_load_ushort v18, v[4:5], off
	v_add_u32_e32 v6, s2, v3
	s_ashr_i32 s2, s4, 31
	s_lshr_b32 s2, s2, 29
	s_add_i32 s4, s4, s2
	v_ashrrev_i32_e32 v7, 31, v6
	s_ashr_i32 s2, s4, 3
	v_lshl_add_u64 v[6:7], v[6:7], 2, s[8:9]
	v_add_u32_e32 v4, s2, v3
	global_load_dword v17, v[6:7], off
	v_ashrrev_i32_e32 v5, 31, v4
	v_lshl_add_u64 v[4:5], v[4:5], 2, s[8:9]
	s_mul_i32 s2, s18, s20
	global_load_dword v19, v[4:5], off
	s_ashr_i32 s5, s2, 31
	s_lshr_b32 s5, s5, 29
	s_add_i32 s5, s2, s5
	s_mul_i32 s4, s19, s20
	s_ashr_i32 s5, s5, 3
	v_add_u32_e32 v4, s5, v3
	s_ashr_i32 s5, s4, 31
	s_lshr_b32 s5, s5, 29
	v_ashrrev_i32_e32 v5, 31, v4
	s_add_i32 s5, s4, s5
	v_lshl_add_u64 v[4:5], v[4:5], 2, s[8:9]
	s_ashr_i32 s5, s5, 3
	global_load_dword v20, v[4:5], off
	v_add_u32_e32 v4, s5, v3
	v_ashrrev_i32_e32 v5, 31, v4
	v_lshl_add_u64 v[4:5], v[4:5], 2, s[8:9]
	global_load_dword v21, v[4:5], off
	v_add_u32_e32 v6, s2, v2
	v_add_u32_e32 v4, s4, v2
	v_ashrrev_i32_e32 v7, 31, v6
	v_lshl_add_u64 v[6:7], v[6:7], 1, s[6:7]
	v_ashrrev_i32_e32 v5, 31, v4
	global_load_ushort v6, v[6:7], off
	v_lshl_add_u64 v[4:5], v[4:5], 1, s[6:7]
	global_load_ushort v7, v[4:5], off
	s_load_dwordx2 s[0:1], s[0:1], 0x30
	s_lshl_b32 s3, s3, 3
	s_and_b32 s3, s3, 0x3ffffff8
	s_mul_i32 s2, s20, s3
	v_add_u32_e32 v2, s2, v2
	v_ashrrev_i32_e32 v3, 31, v2
	s_waitcnt lgkmcnt(0)
	v_lshl_add_u64 v[2:3], v[2:3], 1, s[0:1]
	v_lshlrev_b32_e32 v0, 2, v0
	s_xor_b64 s[0:1], s[22:23], -1
	v_and_b32_e32 v0, 28, v0
	s_waitcnt vmcnt(16)
	v_and_b32_e32 v4, 15, v1
	v_cndmask_b32_e64 v22, 0, 1, s[0:1]
	v_sub_u32_e32 v4, v4, v22
	s_waitcnt vmcnt(13)
	v_bfe_u32 v5, v9, v0, 4
	v_sub_u32_e32 v4, v4, v5
	v_cvt_f32_i32_e32 v4, v4
	v_bfe_u32 v9, v1, 4, 4
	s_waitcnt vmcnt(12)
	v_bfe_u32 v5, v11, v0, 4
	v_sub_u32_e32 v9, v9, v22
	v_sub_u32_e32 v5, v9, v5
	v_cvt_f16_f32_e32 v9, v4
	v_cvt_f32_i32_e32 v5, v5
	s_ashr_i32 s21, s20, 31
	s_lshl_b64 s[0:1], s[20:21], 1
	v_mul_f16_e32 v8, v8, v9
	v_cvt_f16_f32_e32 v11, v5
	v_lshl_add_u64 v[4:5], v[2:3], 0, s[0:1]
	global_store_short v[2:3], v8, off
	v_bfe_u32 v3, v1, 8, 4
	v_sub_u32_e32 v3, v3, v22
	s_waitcnt vmcnt(10)
	v_bfe_u32 v8, v13, v0, 4
	v_sub_u32_e32 v3, v3, v8
	v_bfe_u32 v9, v1, 12, 4
	v_cvt_f32_i32_e32 v3, v3
	s_waitcnt vmcnt(9)
	v_bfe_u32 v8, v15, v0, 4
	v_sub_u32_e32 v9, v9, v22
	v_sub_u32_e32 v8, v9, v8
	v_cvt_f32_i32_e32 v8, v8
	v_cvt_f16_f32_e32 v9, v3
	v_mul_f16_e32 v2, v10, v11
	global_store_short v[4:5], v2, off
	v_cvt_f16_f32_e32 v8, v8
	v_lshl_add_u64 v[2:3], v[4:5], 0, s[0:1]
	v_mul_f16_e32 v9, v12, v9
	v_lshl_add_u64 v[4:5], v[2:3], 0, s[0:1]
	global_store_short v[2:3], v9, off
	v_bfe_u32 v3, v1, 16, 4
	v_mul_f16_e32 v2, v14, v8
	v_sub_u32_e32 v3, v3, v22
	v_bfe_u32 v9, v1, 20, 4
	s_waitcnt vmcnt(8)
	v_bfe_u32 v8, v17, v0, 4
	v_sub_u32_e32 v3, v3, v8
	v_cvt_f32_i32_e32 v3, v3
	v_sub_u32_e32 v9, v9, v22
	s_waitcnt vmcnt(7)
	v_bfe_u32 v8, v19, v0, 4
	v_sub_u32_e32 v8, v9, v8
	v_cvt_f32_i32_e32 v8, v8
	v_cvt_f16_f32_e32 v9, v3
	global_store_short v[4:5], v2, off
	v_lshl_add_u64 v[2:3], v[4:5], 0, s[0:1]
	v_cvt_f16_f32_e32 v8, v8
	v_mul_f16_e32 v9, v16, v9
	v_lshl_add_u64 v[4:5], v[2:3], 0, s[0:1]
	global_store_short v[2:3], v9, off
	v_bfe_u32 v3, v1, 24, 4
	v_mul_f16_e32 v2, v18, v8
	v_sub_u32_e32 v3, v3, v22
	s_waitcnt vmcnt(8)
	v_bfe_u32 v8, v20, v0, 4
	v_lshrrev_b32_e32 v1, 28, v1
	v_sub_u32_e32 v3, v3, v8
	v_sub_u32_e32 v1, v1, v22
	s_waitcnt vmcnt(7)
	v_bfe_u32 v0, v21, v0, 4
	v_cvt_f32_i32_e32 v3, v3
	v_sub_u32_e32 v0, v1, v0
	v_cvt_f32_i32_e32 v8, v0
	global_store_short v[4:5], v2, off
	v_cvt_f16_f32_e32 v9, v3
	v_lshl_add_u64 v[0:1], v[4:5], 0, s[0:1]
	v_cvt_f16_f32_e32 v4, v8
	v_lshl_add_u64 v[2:3], v[0:1], 0, s[0:1]
	s_waitcnt vmcnt(7)
	v_mul_f16_e32 v5, v6, v9
	global_store_short v[0:1], v5, off
	s_waitcnt vmcnt(7)
	v_mul_f16_e32 v0, v7, v4
	global_store_short v[2:3], v0, off
.LBB47_2:
	s_endpgm
	.section	.rodata,"a",@progbits
	.p2align	6, 0x0
	.amdhsa_kernel _ZN4vllm4gptq23reconstruct_gptq_kernelINS0_17MatrixView_q4_rowELi4EEEvPKjPK6__halfS4_PKiiiibPS5_
		.amdhsa_group_segment_fixed_size 0
		.amdhsa_private_segment_fixed_size 0
		.amdhsa_kernarg_size 56
		.amdhsa_user_sgpr_count 2
		.amdhsa_user_sgpr_dispatch_ptr 0
		.amdhsa_user_sgpr_queue_ptr 0
		.amdhsa_user_sgpr_kernarg_segment_ptr 1
		.amdhsa_user_sgpr_dispatch_id 0
		.amdhsa_user_sgpr_kernarg_preload_length 0
		.amdhsa_user_sgpr_kernarg_preload_offset 0
		.amdhsa_user_sgpr_private_segment_size 0
		.amdhsa_uses_dynamic_stack 0
		.amdhsa_enable_private_segment 0
		.amdhsa_system_sgpr_workgroup_id_x 1
		.amdhsa_system_sgpr_workgroup_id_y 1
		.amdhsa_system_sgpr_workgroup_id_z 0
		.amdhsa_system_sgpr_workgroup_info 0
		.amdhsa_system_vgpr_workitem_id 0
		.amdhsa_next_free_vgpr 23
		.amdhsa_next_free_sgpr 24
		.amdhsa_accum_offset 24
		.amdhsa_reserve_vcc 1
		.amdhsa_float_round_mode_32 0
		.amdhsa_float_round_mode_16_64 0
		.amdhsa_float_denorm_mode_32 3
		.amdhsa_float_denorm_mode_16_64 3
		.amdhsa_dx10_clamp 1
		.amdhsa_ieee_mode 1
		.amdhsa_fp16_overflow 0
		.amdhsa_tg_split 0
		.amdhsa_exception_fp_ieee_invalid_op 0
		.amdhsa_exception_fp_denorm_src 0
		.amdhsa_exception_fp_ieee_div_zero 0
		.amdhsa_exception_fp_ieee_overflow 0
		.amdhsa_exception_fp_ieee_underflow 0
		.amdhsa_exception_fp_ieee_inexact 0
		.amdhsa_exception_int_div_zero 0
	.end_amdhsa_kernel
	.section	.text._ZN4vllm4gptq23reconstruct_gptq_kernelINS0_17MatrixView_q4_rowELi4EEEvPKjPK6__halfS4_PKiiiibPS5_,"axG",@progbits,_ZN4vllm4gptq23reconstruct_gptq_kernelINS0_17MatrixView_q4_rowELi4EEEvPKjPK6__halfS4_PKiiiibPS5_,comdat
.Lfunc_end47:
	.size	_ZN4vllm4gptq23reconstruct_gptq_kernelINS0_17MatrixView_q4_rowELi4EEEvPKjPK6__halfS4_PKiiiibPS5_, .Lfunc_end47-_ZN4vllm4gptq23reconstruct_gptq_kernelINS0_17MatrixView_q4_rowELi4EEEvPKjPK6__halfS4_PKiiiibPS5_
                                        ; -- End function
	.set _ZN4vllm4gptq23reconstruct_gptq_kernelINS0_17MatrixView_q4_rowELi4EEEvPKjPK6__halfS4_PKiiiibPS5_.num_vgpr, 23
	.set _ZN4vllm4gptq23reconstruct_gptq_kernelINS0_17MatrixView_q4_rowELi4EEEvPKjPK6__halfS4_PKiiiibPS5_.num_agpr, 0
	.set _ZN4vllm4gptq23reconstruct_gptq_kernelINS0_17MatrixView_q4_rowELi4EEEvPKjPK6__halfS4_PKiiiibPS5_.numbered_sgpr, 24
	.set _ZN4vllm4gptq23reconstruct_gptq_kernelINS0_17MatrixView_q4_rowELi4EEEvPKjPK6__halfS4_PKiiiibPS5_.num_named_barrier, 0
	.set _ZN4vllm4gptq23reconstruct_gptq_kernelINS0_17MatrixView_q4_rowELi4EEEvPKjPK6__halfS4_PKiiiibPS5_.private_seg_size, 0
	.set _ZN4vllm4gptq23reconstruct_gptq_kernelINS0_17MatrixView_q4_rowELi4EEEvPKjPK6__halfS4_PKiiiibPS5_.uses_vcc, 1
	.set _ZN4vllm4gptq23reconstruct_gptq_kernelINS0_17MatrixView_q4_rowELi4EEEvPKjPK6__halfS4_PKiiiibPS5_.uses_flat_scratch, 0
	.set _ZN4vllm4gptq23reconstruct_gptq_kernelINS0_17MatrixView_q4_rowELi4EEEvPKjPK6__halfS4_PKiiiibPS5_.has_dyn_sized_stack, 0
	.set _ZN4vllm4gptq23reconstruct_gptq_kernelINS0_17MatrixView_q4_rowELi4EEEvPKjPK6__halfS4_PKiiiibPS5_.has_recursion, 0
	.set _ZN4vllm4gptq23reconstruct_gptq_kernelINS0_17MatrixView_q4_rowELi4EEEvPKjPK6__halfS4_PKiiiibPS5_.has_indirect_call, 0
	.section	.AMDGPU.csdata,"",@progbits
; Kernel info:
; codeLenInByte = 1184
; TotalNumSgprs: 30
; NumVgprs: 23
; NumAgprs: 0
; TotalNumVgprs: 23
; ScratchSize: 0
; MemoryBound: 0
; FloatMode: 240
; IeeeMode: 1
; LDSByteSize: 0 bytes/workgroup (compile time only)
; SGPRBlocks: 3
; VGPRBlocks: 2
; NumSGPRsForWavesPerEU: 30
; NumVGPRsForWavesPerEU: 23
; AccumOffset: 24
; Occupancy: 8
; WaveLimiterHint : 0
; COMPUTE_PGM_RSRC2:SCRATCH_EN: 0
; COMPUTE_PGM_RSRC2:USER_SGPR: 2
; COMPUTE_PGM_RSRC2:TRAP_HANDLER: 0
; COMPUTE_PGM_RSRC2:TGID_X_EN: 1
; COMPUTE_PGM_RSRC2:TGID_Y_EN: 1
; COMPUTE_PGM_RSRC2:TGID_Z_EN: 0
; COMPUTE_PGM_RSRC2:TIDIG_COMP_CNT: 0
; COMPUTE_PGM_RSRC3_GFX90A:ACCUM_OFFSET: 5
; COMPUTE_PGM_RSRC3_GFX90A:TG_SPLIT: 0
	.section	.text._ZN4vllm4gptq23reconstruct_gptq_kernelINS0_17MatrixView_q2_rowELi2EEEvPKjPK6__halfS4_PKiiiibPS5_,"axG",@progbits,_ZN4vllm4gptq23reconstruct_gptq_kernelINS0_17MatrixView_q2_rowELi2EEEvPKjPK6__halfS4_PKiiiibPS5_,comdat
	.protected	_ZN4vllm4gptq23reconstruct_gptq_kernelINS0_17MatrixView_q2_rowELi2EEEvPKjPK6__halfS4_PKiiiibPS5_ ; -- Begin function _ZN4vllm4gptq23reconstruct_gptq_kernelINS0_17MatrixView_q2_rowELi2EEEvPKjPK6__halfS4_PKiiiibPS5_
	.globl	_ZN4vllm4gptq23reconstruct_gptq_kernelINS0_17MatrixView_q2_rowELi2EEEvPKjPK6__halfS4_PKiiiibPS5_
	.p2align	8
	.type	_ZN4vllm4gptq23reconstruct_gptq_kernelINS0_17MatrixView_q2_rowELi2EEEvPKjPK6__halfS4_PKiiiibPS5_,@function
_ZN4vllm4gptq23reconstruct_gptq_kernelINS0_17MatrixView_q2_rowELi2EEEvPKjPK6__halfS4_PKiiiibPS5_: ; @_ZN4vllm4gptq23reconstruct_gptq_kernelINS0_17MatrixView_q2_rowELi2EEEvPKjPK6__halfS4_PKiiiibPS5_
; %bb.0:
	s_load_dword s28, s[0:1], 0x24
	v_lshl_add_u32 v3, s2, 7, v0
	s_waitcnt lgkmcnt(0)
	v_cmp_gt_u32_e32 vcc, s28, v3
	s_and_saveexec_b64 s[4:5], vcc
	s_cbranch_execz .LBB48_2
; %bb.1:
	s_load_dword s2, s[0:1], 0x2c
	s_load_dwordx8 s[20:27], s[0:1], 0x0
	s_mul_i32 s6, s28, s3
	s_mov_b32 s31, 0
	v_add_u32_e32 v4, s6, v3
	s_waitcnt lgkmcnt(0)
	s_bitcmp1_b32 s2, 0
	s_cselect_b64 s[4:5], -1, 0
	s_lshl_b32 s2, s3, 4
	s_and_b32 s30, s2, 0x7ffffff0
	s_xor_b64 s[2:3], s[4:5], -1
	v_mov_b32_e32 v5, 0
	s_ashr_i32 s29, s28, 31
	s_lshl_b64 s[4:5], s[30:31], 2
	v_lshl_add_u64 v[4:5], v[4:5], 2, s[20:21]
	s_add_u32 s20, s26, s4
	s_addc_u32 s21, s27, s5
	s_load_dwordx16 s[4:19], s[20:21], 0x0
	v_ashrrev_i32_e32 v1, 31, v3
	v_lshrrev_b32_e32 v1, 28, v1
	v_add_u32_e32 v1, v3, v1
	global_load_dword v2, v[4:5], off
	s_waitcnt lgkmcnt(0)
	s_mul_i32 s4, s4, s28
	s_mul_i32 s5, s5, s28
	s_ashr_i32 s20, s4, 31
	v_add_u32_e32 v6, s5, v3
	v_add_u32_e32 v8, s4, v3
	s_lshr_b32 s20, s20, 28
	v_ashrrev_i32_e32 v9, 31, v8
	s_add_i32 s4, s4, s20
	v_ashrrev_i32_e32 v7, 31, v6
	v_ashrrev_i32_e32 v4, 4, v1
	v_lshl_add_u64 v[8:9], v[8:9], 1, s[22:23]
	s_ashr_i32 s4, s4, 4
	v_lshl_add_u64 v[6:7], v[6:7], 1, s[22:23]
	global_load_ushort v10, v[8:9], off
	global_load_ushort v11, v[6:7], off
	v_add_u32_e32 v8, s4, v4
	s_ashr_i32 s4, s5, 31
	s_lshr_b32 s4, s4, 28
	v_ashrrev_i32_e32 v9, 31, v8
	s_add_i32 s5, s5, s4
	v_lshl_add_u64 v[8:9], v[8:9], 2, s[24:25]
	s_ashr_i32 s4, s5, 4
	global_load_dword v1, v[8:9], off
	v_add_u32_e32 v6, s4, v4
	v_ashrrev_i32_e32 v7, 31, v6
	v_lshl_add_u64 v[6:7], v[6:7], 2, s[24:25]
	s_mul_i32 s4, s6, s28
	global_load_dword v12, v[6:7], off
	s_mul_i32 s5, s7, s28
	s_ashr_i32 s6, s4, 31
	v_add_u32_e32 v6, s5, v3
	v_add_u32_e32 v8, s4, v3
	s_lshr_b32 s6, s6, 28
	v_ashrrev_i32_e32 v9, 31, v8
	s_add_i32 s4, s4, s6
	v_ashrrev_i32_e32 v7, 31, v6
	v_lshl_add_u64 v[8:9], v[8:9], 1, s[22:23]
	s_ashr_i32 s4, s4, 4
	v_lshl_add_u64 v[6:7], v[6:7], 1, s[22:23]
	global_load_ushort v13, v[8:9], off
	global_load_ushort v15, v[6:7], off
	v_add_u32_e32 v8, s4, v4
	s_ashr_i32 s4, s5, 31
	s_lshr_b32 s4, s4, 28
	s_add_i32 s5, s5, s4
	v_ashrrev_i32_e32 v9, 31, v8
	s_ashr_i32 s4, s5, 4
	v_lshl_add_u64 v[8:9], v[8:9], 2, s[24:25]
	v_add_u32_e32 v6, s4, v4
	global_load_dword v14, v[8:9], off
	v_ashrrev_i32_e32 v7, 31, v6
	v_lshl_add_u64 v[6:7], v[6:7], 2, s[24:25]
	s_mul_i32 s4, s8, s28
	global_load_dword v16, v[6:7], off
	s_ashr_i32 s6, s4, 31
	s_lshr_b32 s6, s6, 28
	s_add_i32 s6, s4, s6
	s_mul_i32 s5, s9, s28
	s_ashr_i32 s6, s6, 4
	v_add_u32_e32 v6, s6, v4
	s_ashr_i32 s6, s5, 31
	s_lshr_b32 s6, s6, 28
	v_ashrrev_i32_e32 v7, 31, v6
	s_add_i32 s6, s5, s6
	v_lshl_add_u64 v[6:7], v[6:7], 2, s[24:25]
	s_ashr_i32 s6, s6, 4
	global_load_dword v17, v[6:7], off
	v_add_u32_e32 v6, s6, v4
	v_ashrrev_i32_e32 v7, 31, v6
	v_lshl_add_u64 v[6:7], v[6:7], 2, s[24:25]
	global_load_dword v18, v[6:7], off
	v_add_u32_e32 v8, s4, v3
	s_mul_i32 s4, s10, s28
	s_ashr_i32 s6, s4, 31
	v_add_u32_e32 v6, s5, v3
	s_lshr_b32 s6, s6, 28
	v_ashrrev_i32_e32 v9, 31, v8
	v_ashrrev_i32_e32 v7, 31, v6
	s_add_i32 s6, s4, s6
	v_lshl_add_u64 v[8:9], v[8:9], 1, s[22:23]
	v_lshl_add_u64 v[6:7], v[6:7], 1, s[22:23]
	s_ashr_i32 s6, s6, 4
	global_load_ushort v19, v[8:9], off
	global_load_ushort v20, v[6:7], off
	v_add_u32_e32 v6, s6, v4
	v_ashrrev_i32_e32 v7, 31, v6
	v_lshl_add_u64 v[6:7], v[6:7], 2, s[24:25]
	global_load_dword v21, v[6:7], off
	s_mul_i32 s5, s11, s28
	s_ashr_i32 s6, s5, 31
	s_lshr_b32 s6, s6, 28
	s_add_i32 s6, s5, s6
	s_ashr_i32 s6, s6, 4
	v_add_u32_e32 v6, s6, v4
	v_ashrrev_i32_e32 v7, 31, v6
	v_lshl_add_u64 v[6:7], v[6:7], 2, s[24:25]
	v_lshlrev_b32_e32 v0, 1, v0
	global_load_dword v7, v[6:7], off
	v_and_b32_e32 v5, 30, v0
	s_waitcnt vmcnt(14)
	v_and_b32_e32 v0, 3, v2
	v_cndmask_b32_e64 v6, 0, 1, s[2:3]
	v_sub_u32_e32 v0, v0, v6
	s_waitcnt vmcnt(11)
	v_bfe_u32 v1, v1, v5, 2
	v_sub_u32_e32 v0, v0, v1
	v_cvt_f32_i32_e32 v22, v0
	v_bfe_u32 v1, v2, 2, 2
	v_sub_u32_e32 v1, v1, v6
	s_waitcnt vmcnt(10)
	v_bfe_u32 v0, v12, v5, 2
	v_sub_u32_e32 v0, v1, v0
	s_load_dwordx2 s[0:1], s[0:1], 0x30
	v_cvt_f32_i32_e32 v12, v0
	v_cvt_f16_f32_e32 v22, v22
	s_mul_i32 s6, s28, s30
	v_add_u32_e32 v8, s6, v3
	v_ashrrev_i32_e32 v9, 31, v8
	v_cvt_f16_f32_e32 v12, v12
	s_waitcnt lgkmcnt(0)
	v_lshl_add_u64 v[0:1], v[8:9], 1, s[0:1]
	s_lshl_b64 s[0:1], s[28:29], 1
	v_mul_f16_e32 v10, v10, v22
	v_lshl_add_u64 v[8:9], v[0:1], 0, s[0:1]
	global_store_short v[0:1], v10, off
	v_bfe_u32 v1, v2, 4, 2
	v_sub_u32_e32 v1, v1, v6
	v_mul_f16_e32 v0, v11, v12
	v_bfe_u32 v11, v2, 6, 2
	v_sub_u32_e32 v11, v11, v6
	global_store_short v[8:9], v0, off
	s_mul_i32 s2, s12, s28
	s_mul_i32 s3, s13, s28
	s_waitcnt vmcnt(9)
	v_bfe_u32 v10, v14, v5, 2
	v_sub_u32_e32 v1, v1, v10
	v_cvt_f32_i32_e32 v1, v1
	s_waitcnt vmcnt(8)
	v_bfe_u32 v10, v16, v5, 2
	v_sub_u32_e32 v10, v11, v10
	v_cvt_f32_i32_e32 v10, v10
	v_cvt_f16_f32_e32 v11, v1
	v_lshl_add_u64 v[0:1], v[8:9], 0, s[0:1]
	v_lshl_add_u64 v[8:9], v[0:1], 0, s[0:1]
	v_cvt_f16_f32_e32 v10, v10
	v_mul_f16_e32 v11, v13, v11
	global_store_short v[0:1], v11, off
	v_bfe_u32 v1, v2, 8, 2
	v_mul_f16_e32 v0, v15, v10
	v_sub_u32_e32 v1, v1, v6
	v_bfe_u32 v11, v2, 10, 2
	s_waitcnt vmcnt(8)
	v_bfe_u32 v10, v17, v5, 2
	v_sub_u32_e32 v1, v1, v10
	v_sub_u32_e32 v11, v11, v6
	v_cvt_f32_i32_e32 v1, v1
	s_waitcnt vmcnt(7)
	v_bfe_u32 v10, v18, v5, 2
	v_sub_u32_e32 v10, v11, v10
	v_cvt_f32_i32_e32 v10, v10
	v_cvt_f16_f32_e32 v11, v1
	global_store_short v[8:9], v0, off
	v_lshl_add_u64 v[8:9], v[8:9], 0, s[0:1]
	v_cvt_f16_f32_e32 v10, v10
	v_lshl_add_u64 v[0:1], v[8:9], 0, s[0:1]
	s_waitcnt vmcnt(7)
	v_mul_f16_e32 v11, v19, v11
	s_waitcnt vmcnt(6)
	v_mul_f16_e32 v12, v20, v10
	v_add_u32_e32 v10, s4, v3
	global_store_short v[8:9], v11, off
	v_ashrrev_i32_e32 v11, 31, v10
	v_bfe_u32 v8, v2, 12, 2
	v_lshl_add_u64 v[10:11], v[10:11], 1, s[22:23]
	v_sub_u32_e32 v9, v8, v6
	global_load_ushort v13, v[10:11], off
	s_waitcnt vmcnt(7)
	v_bfe_u32 v10, v21, v5, 2
	s_ashr_i32 s4, s2, 31
	v_add_u32_e32 v8, s5, v3
	v_sub_u32_e32 v9, v9, v10
	v_add_u32_e32 v10, s2, v3
	s_lshr_b32 s4, s4, 28
	v_cvt_f32_i32_e32 v14, v9
	v_ashrrev_i32_e32 v9, 31, v8
	v_ashrrev_i32_e32 v11, 31, v10
	s_add_i32 s2, s2, s4
	v_lshl_add_u64 v[8:9], v[8:9], 1, s[22:23]
	v_lshl_add_u64 v[10:11], v[10:11], 1, s[22:23]
	s_ashr_i32 s2, s2, 4
	global_load_ushort v15, v[8:9], off
	global_load_ushort v16, v[10:11], off
	v_add_u32_e32 v10, s2, v4
	s_ashr_i32 s2, s3, 31
	v_add_u32_e32 v8, s3, v3
	s_lshr_b32 s2, s2, 28
	v_ashrrev_i32_e32 v9, 31, v8
	s_add_i32 s3, s3, s2
	v_ashrrev_i32_e32 v11, 31, v10
	v_lshl_add_u64 v[8:9], v[8:9], 1, s[22:23]
	s_ashr_i32 s2, s3, 4
	v_lshl_add_u64 v[10:11], v[10:11], 2, s[24:25]
	global_load_ushort v18, v[8:9], off
	v_add_u32_e32 v8, s2, v4
	global_load_dword v17, v[10:11], off
	v_ashrrev_i32_e32 v9, 31, v8
	v_lshl_add_u64 v[8:9], v[8:9], 2, s[24:25]
	global_load_dword v19, v[8:9], off
	s_mul_i32 s2, s14, s28
	s_mul_i32 s3, s15, s28
	s_ashr_i32 s4, s2, 31
	v_add_u32_e32 v8, s3, v3
	v_add_u32_e32 v10, s2, v3
	s_lshr_b32 s4, s4, 28
	v_ashrrev_i32_e32 v11, 31, v10
	s_add_i32 s2, s2, s4
	v_ashrrev_i32_e32 v9, 31, v8
	v_lshl_add_u64 v[10:11], v[10:11], 1, s[22:23]
	s_ashr_i32 s2, s2, 4
	v_lshl_add_u64 v[8:9], v[8:9], 1, s[22:23]
	global_load_ushort v20, v[10:11], off
	global_load_ushort v22, v[8:9], off
	v_add_u32_e32 v10, s2, v4
	s_ashr_i32 s2, s3, 31
	s_lshr_b32 s2, s2, 28
	s_add_i32 s3, s3, s2
	v_ashrrev_i32_e32 v11, 31, v10
	s_ashr_i32 s2, s3, 4
	v_lshl_add_u64 v[10:11], v[10:11], 2, s[24:25]
	v_add_u32_e32 v8, s2, v4
	global_load_dword v21, v[10:11], off
	v_ashrrev_i32_e32 v9, 31, v8
	v_lshl_add_u64 v[8:9], v[8:9], 2, s[24:25]
	global_load_dword v23, v[8:9], off
	s_mul_i32 s2, s16, s28
	s_mul_i32 s3, s17, s28
	s_ashr_i32 s4, s2, 31
	v_add_u32_e32 v8, s3, v3
	v_add_u32_e32 v10, s2, v3
	s_lshr_b32 s4, s4, 28
	v_ashrrev_i32_e32 v11, 31, v10
	s_add_i32 s2, s2, s4
	v_ashrrev_i32_e32 v9, 31, v8
	v_lshl_add_u64 v[10:11], v[10:11], 1, s[22:23]
	s_ashr_i32 s2, s2, 4
	v_lshl_add_u64 v[8:9], v[8:9], 1, s[22:23]
	global_load_ushort v24, v[10:11], off
	global_load_ushort v26, v[8:9], off
	v_add_u32_e32 v10, s2, v4
	s_ashr_i32 s2, s3, 31
	s_lshr_b32 s2, s2, 28
	s_add_i32 s3, s3, s2
	v_ashrrev_i32_e32 v11, 31, v10
	s_ashr_i32 s2, s3, 4
	v_lshl_add_u64 v[10:11], v[10:11], 2, s[24:25]
	v_add_u32_e32 v8, s2, v4
	global_load_dword v25, v[10:11], off
	v_ashrrev_i32_e32 v9, 31, v8
	v_lshl_add_u64 v[8:9], v[8:9], 2, s[24:25]
	s_mul_i32 s2, s18, s28
	global_load_dword v27, v[8:9], off
	s_ashr_i32 s4, s2, 31
	s_lshr_b32 s4, s4, 28
	s_add_i32 s4, s2, s4
	s_mul_i32 s3, s19, s28
	s_ashr_i32 s4, s4, 4
	v_add_u32_e32 v8, s4, v4
	s_ashr_i32 s4, s3, 31
	s_lshr_b32 s4, s4, 28
	v_ashrrev_i32_e32 v9, 31, v8
	s_add_i32 s4, s3, s4
	v_lshl_add_u64 v[8:9], v[8:9], 2, s[24:25]
	s_ashr_i32 s4, s4, 4
	global_load_dword v28, v[8:9], off
	v_add_u32_e32 v8, s4, v4
	v_ashrrev_i32_e32 v9, 31, v8
	v_lshl_add_u64 v[8:9], v[8:9], 2, s[24:25]
	global_load_dword v4, v[8:9], off
	v_bfe_u32 v8, v2, 14, 2
	s_waitcnt vmcnt(21)
	v_bfe_u32 v7, v7, v5, 2
	v_sub_u32_e32 v8, v8, v6
	v_add_u32_e32 v10, s2, v3
	v_sub_u32_e32 v7, v8, v7
	v_add_u32_e32 v8, s3, v3
	v_ashrrev_i32_e32 v11, 31, v10
	v_lshl_add_u64 v[10:11], v[10:11], 1, s[22:23]
	v_ashrrev_i32_e32 v9, 31, v8
	global_load_ushort v10, v[10:11], off
	v_lshl_add_u64 v[8:9], v[8:9], 1, s[22:23]
	global_load_ushort v11, v[8:9], off
	v_cvt_f32_i32_e32 v7, v7
	v_cvt_f16_f32_e32 v3, v14
	global_store_short v[0:1], v12, off
	v_lshl_add_u64 v[0:1], v[0:1], 0, s[0:1]
	v_cvt_f16_f32_e32 v7, v7
	s_waitcnt vmcnt(18)
	v_mul_f16_e32 v3, v13, v3
	v_lshl_add_u64 v[8:9], v[0:1], 0, s[0:1]
	global_store_short v[0:1], v3, off
	v_bfe_u32 v1, v2, 16, 2
	v_sub_u32_e32 v1, v1, v6
	s_waitcnt vmcnt(15)
	v_bfe_u32 v3, v17, v5, 2
	v_mul_f16_e32 v0, v15, v7
	v_sub_u32_e32 v1, v1, v3
	v_bfe_u32 v7, v2, 18, 2
	v_cvt_f32_i32_e32 v1, v1
	s_waitcnt vmcnt(14)
	v_bfe_u32 v3, v19, v5, 2
	v_sub_u32_e32 v7, v7, v6
	v_sub_u32_e32 v3, v7, v3
	v_cvt_f32_i32_e32 v3, v3
	v_cvt_f16_f32_e32 v7, v1
	global_store_short v[8:9], v0, off
	v_lshl_add_u64 v[0:1], v[8:9], 0, s[0:1]
	v_cvt_f16_f32_e32 v3, v3
	v_mul_f16_e32 v7, v16, v7
	v_lshl_add_u64 v[8:9], v[0:1], 0, s[0:1]
	global_store_short v[0:1], v7, off
	v_bfe_u32 v1, v2, 20, 2
	v_mul_f16_e32 v0, v18, v3
	v_sub_u32_e32 v1, v1, v6
	s_waitcnt vmcnt(13)
	v_bfe_u32 v3, v21, v5, 2
	v_sub_u32_e32 v1, v1, v3
	v_bfe_u32 v7, v2, 22, 2
	v_cvt_f32_i32_e32 v1, v1
	s_waitcnt vmcnt(12)
	v_bfe_u32 v3, v23, v5, 2
	v_sub_u32_e32 v7, v7, v6
	v_sub_u32_e32 v3, v7, v3
	v_cvt_f32_i32_e32 v3, v3
	v_cvt_f16_f32_e32 v7, v1
	global_store_short v[8:9], v0, off
	v_lshl_add_u64 v[0:1], v[8:9], 0, s[0:1]
	v_cvt_f16_f32_e32 v3, v3
	v_mul_f16_e32 v7, v20, v7
	v_lshl_add_u64 v[8:9], v[0:1], 0, s[0:1]
	global_store_short v[0:1], v7, off
	v_bfe_u32 v1, v2, 24, 2
	v_mul_f16_e32 v0, v22, v3
	v_sub_u32_e32 v1, v1, v6
	s_waitcnt vmcnt(11)
	v_bfe_u32 v3, v25, v5, 2
	;; [unrolled: 20-line block ×3, first 2 shown]
	v_lshrrev_b32_e32 v2, 30, v2
	v_sub_u32_e32 v1, v1, v3
	s_waitcnt vmcnt(10)
	v_bfe_u32 v3, v4, v5, 2
	v_sub_u32_e32 v2, v2, v6
	v_cvt_f32_i32_e32 v1, v1
	v_sub_u32_e32 v2, v2, v3
	v_cvt_f32_i32_e32 v2, v2
	global_store_short v[8:9], v0, off
	v_cvt_f16_f32_e32 v4, v1
	v_lshl_add_u64 v[0:1], v[8:9], 0, s[0:1]
	v_cvt_f16_f32_e32 v5, v2
	v_lshl_add_u64 v[2:3], v[0:1], 0, s[0:1]
	s_waitcnt vmcnt(10)
	v_mul_f16_e32 v4, v10, v4
	global_store_short v[0:1], v4, off
	s_waitcnt vmcnt(10)
	v_mul_f16_e32 v0, v11, v5
	global_store_short v[2:3], v0, off
.LBB48_2:
	s_endpgm
	.section	.rodata,"a",@progbits
	.p2align	6, 0x0
	.amdhsa_kernel _ZN4vllm4gptq23reconstruct_gptq_kernelINS0_17MatrixView_q2_rowELi2EEEvPKjPK6__halfS4_PKiiiibPS5_
		.amdhsa_group_segment_fixed_size 0
		.amdhsa_private_segment_fixed_size 0
		.amdhsa_kernarg_size 56
		.amdhsa_user_sgpr_count 2
		.amdhsa_user_sgpr_dispatch_ptr 0
		.amdhsa_user_sgpr_queue_ptr 0
		.amdhsa_user_sgpr_kernarg_segment_ptr 1
		.amdhsa_user_sgpr_dispatch_id 0
		.amdhsa_user_sgpr_kernarg_preload_length 0
		.amdhsa_user_sgpr_kernarg_preload_offset 0
		.amdhsa_user_sgpr_private_segment_size 0
		.amdhsa_uses_dynamic_stack 0
		.amdhsa_enable_private_segment 0
		.amdhsa_system_sgpr_workgroup_id_x 1
		.amdhsa_system_sgpr_workgroup_id_y 1
		.amdhsa_system_sgpr_workgroup_id_z 0
		.amdhsa_system_sgpr_workgroup_info 0
		.amdhsa_system_vgpr_workitem_id 0
		.amdhsa_next_free_vgpr 29
		.amdhsa_next_free_sgpr 32
		.amdhsa_accum_offset 32
		.amdhsa_reserve_vcc 1
		.amdhsa_float_round_mode_32 0
		.amdhsa_float_round_mode_16_64 0
		.amdhsa_float_denorm_mode_32 3
		.amdhsa_float_denorm_mode_16_64 3
		.amdhsa_dx10_clamp 1
		.amdhsa_ieee_mode 1
		.amdhsa_fp16_overflow 0
		.amdhsa_tg_split 0
		.amdhsa_exception_fp_ieee_invalid_op 0
		.amdhsa_exception_fp_denorm_src 0
		.amdhsa_exception_fp_ieee_div_zero 0
		.amdhsa_exception_fp_ieee_overflow 0
		.amdhsa_exception_fp_ieee_underflow 0
		.amdhsa_exception_fp_ieee_inexact 0
		.amdhsa_exception_int_div_zero 0
	.end_amdhsa_kernel
	.section	.text._ZN4vllm4gptq23reconstruct_gptq_kernelINS0_17MatrixView_q2_rowELi2EEEvPKjPK6__halfS4_PKiiiibPS5_,"axG",@progbits,_ZN4vllm4gptq23reconstruct_gptq_kernelINS0_17MatrixView_q2_rowELi2EEEvPKjPK6__halfS4_PKiiiibPS5_,comdat
.Lfunc_end48:
	.size	_ZN4vllm4gptq23reconstruct_gptq_kernelINS0_17MatrixView_q2_rowELi2EEEvPKjPK6__halfS4_PKiiiibPS5_, .Lfunc_end48-_ZN4vllm4gptq23reconstruct_gptq_kernelINS0_17MatrixView_q2_rowELi2EEEvPKjPK6__halfS4_PKiiiibPS5_
                                        ; -- End function
	.set _ZN4vllm4gptq23reconstruct_gptq_kernelINS0_17MatrixView_q2_rowELi2EEEvPKjPK6__halfS4_PKiiiibPS5_.num_vgpr, 29
	.set _ZN4vllm4gptq23reconstruct_gptq_kernelINS0_17MatrixView_q2_rowELi2EEEvPKjPK6__halfS4_PKiiiibPS5_.num_agpr, 0
	.set _ZN4vllm4gptq23reconstruct_gptq_kernelINS0_17MatrixView_q2_rowELi2EEEvPKjPK6__halfS4_PKiiiibPS5_.numbered_sgpr, 32
	.set _ZN4vllm4gptq23reconstruct_gptq_kernelINS0_17MatrixView_q2_rowELi2EEEvPKjPK6__halfS4_PKiiiibPS5_.num_named_barrier, 0
	.set _ZN4vllm4gptq23reconstruct_gptq_kernelINS0_17MatrixView_q2_rowELi2EEEvPKjPK6__halfS4_PKiiiibPS5_.private_seg_size, 0
	.set _ZN4vllm4gptq23reconstruct_gptq_kernelINS0_17MatrixView_q2_rowELi2EEEvPKjPK6__halfS4_PKiiiibPS5_.uses_vcc, 1
	.set _ZN4vllm4gptq23reconstruct_gptq_kernelINS0_17MatrixView_q2_rowELi2EEEvPKjPK6__halfS4_PKiiiibPS5_.uses_flat_scratch, 0
	.set _ZN4vllm4gptq23reconstruct_gptq_kernelINS0_17MatrixView_q2_rowELi2EEEvPKjPK6__halfS4_PKiiiibPS5_.has_dyn_sized_stack, 0
	.set _ZN4vllm4gptq23reconstruct_gptq_kernelINS0_17MatrixView_q2_rowELi2EEEvPKjPK6__halfS4_PKiiiibPS5_.has_recursion, 0
	.set _ZN4vllm4gptq23reconstruct_gptq_kernelINS0_17MatrixView_q2_rowELi2EEEvPKjPK6__halfS4_PKiiiibPS5_.has_indirect_call, 0
	.section	.AMDGPU.csdata,"",@progbits
; Kernel info:
; codeLenInByte = 2200
; TotalNumSgprs: 38
; NumVgprs: 29
; NumAgprs: 0
; TotalNumVgprs: 29
; ScratchSize: 0
; MemoryBound: 0
; FloatMode: 240
; IeeeMode: 1
; LDSByteSize: 0 bytes/workgroup (compile time only)
; SGPRBlocks: 4
; VGPRBlocks: 3
; NumSGPRsForWavesPerEU: 38
; NumVGPRsForWavesPerEU: 29
; AccumOffset: 32
; Occupancy: 8
; WaveLimiterHint : 0
; COMPUTE_PGM_RSRC2:SCRATCH_EN: 0
; COMPUTE_PGM_RSRC2:USER_SGPR: 2
; COMPUTE_PGM_RSRC2:TRAP_HANDLER: 0
; COMPUTE_PGM_RSRC2:TGID_X_EN: 1
; COMPUTE_PGM_RSRC2:TGID_Y_EN: 1
; COMPUTE_PGM_RSRC2:TGID_Z_EN: 0
; COMPUTE_PGM_RSRC2:TIDIG_COMP_CNT: 0
; COMPUTE_PGM_RSRC3_GFX90A:ACCUM_OFFSET: 7
; COMPUTE_PGM_RSRC3_GFX90A:TG_SPLIT: 0
	.section	.text._ZN4vllm4gptq23reconstruct_gptq_kernelINS0_17MatrixView_q8_rowELi8EEEvPKjPK6__halfS4_PKiiiibPS5_,"axG",@progbits,_ZN4vllm4gptq23reconstruct_gptq_kernelINS0_17MatrixView_q8_rowELi8EEEvPKjPK6__halfS4_PKiiiibPS5_,comdat
	.protected	_ZN4vllm4gptq23reconstruct_gptq_kernelINS0_17MatrixView_q8_rowELi8EEEvPKjPK6__halfS4_PKiiiibPS5_ ; -- Begin function _ZN4vllm4gptq23reconstruct_gptq_kernelINS0_17MatrixView_q8_rowELi8EEEvPKjPK6__halfS4_PKiiiibPS5_
	.globl	_ZN4vllm4gptq23reconstruct_gptq_kernelINS0_17MatrixView_q8_rowELi8EEEvPKjPK6__halfS4_PKiiiibPS5_
	.p2align	8
	.type	_ZN4vllm4gptq23reconstruct_gptq_kernelINS0_17MatrixView_q8_rowELi8EEEvPKjPK6__halfS4_PKiiiibPS5_,@function
_ZN4vllm4gptq23reconstruct_gptq_kernelINS0_17MatrixView_q8_rowELi8EEEvPKjPK6__halfS4_PKiiiibPS5_: ; @_ZN4vllm4gptq23reconstruct_gptq_kernelINS0_17MatrixView_q8_rowELi8EEEvPKjPK6__halfS4_PKiiiibPS5_
; %bb.0:
	s_load_dword s16, s[0:1], 0x24
	v_lshl_add_u32 v1, s2, 7, v0
	s_waitcnt lgkmcnt(0)
	v_cmp_gt_u32_e32 vcc, s16, v1
	s_and_saveexec_b64 s[4:5], vcc
	s_cbranch_execz .LBB49_2
; %bb.1:
	s_load_dword s2, s[0:1], 0x2c
	s_load_dwordx8 s[4:11], s[0:1], 0x0
	s_mul_i32 s12, s16, s3
	v_add_u32_e32 v2, s12, v1
	v_mov_b32_e32 v3, 0
	s_waitcnt lgkmcnt(0)
	s_bitcmp1_b32 s2, 0
	s_cselect_b64 s[18:19], -1, 0
	s_lshl_b32 s2, s3, 2
	s_and_b32 s20, s2, 0x1ffffffc
	s_lshl_b32 s2, s20, 2
	s_load_dwordx4 s[12:15], s[10:11], s2 offset:0x0
	v_lshl_add_u64 v[2:3], v[2:3], 2, s[4:5]
	global_load_dword v8, v[2:3], off
	v_ashrrev_i32_e32 v2, 31, v1
	v_lshrrev_b32_e32 v2, 30, v2
	s_waitcnt lgkmcnt(0)
	s_mul_i32 s2, s12, s16
	s_ashr_i32 s4, s2, 31
	s_lshr_b32 s4, s4, 30
	v_add_u32_e32 v2, v1, v2
	s_add_i32 s4, s2, s4
	v_ashrrev_i32_e32 v4, 2, v2
	s_mul_i32 s3, s13, s16
	s_ashr_i32 s4, s4, 2
	v_add_u32_e32 v2, s4, v4
	s_ashr_i32 s4, s3, 31
	s_lshr_b32 s4, s4, 30
	v_ashrrev_i32_e32 v3, 31, v2
	s_add_i32 s4, s3, s4
	v_lshl_add_u64 v[2:3], v[2:3], 2, s[8:9]
	s_ashr_i32 s4, s4, 2
	global_load_dword v9, v[2:3], off
	v_add_u32_e32 v2, s4, v4
	s_mul_i32 s4, s14, s16
	s_ashr_i32 s10, s4, 31
	s_lshr_b32 s10, s10, 30
	v_ashrrev_i32_e32 v3, 31, v2
	s_add_i32 s10, s4, s10
	v_lshl_add_u64 v[2:3], v[2:3], 2, s[8:9]
	s_mul_i32 s5, s15, s16
	s_ashr_i32 s10, s10, 2
	global_load_dword v10, v[2:3], off
	v_add_u32_e32 v2, s10, v4
	s_ashr_i32 s10, s5, 31
	s_lshr_b32 s10, s10, 30
	v_ashrrev_i32_e32 v3, 31, v2
	s_add_i32 s10, s5, s10
	v_lshl_add_u64 v[2:3], v[2:3], 2, s[8:9]
	s_ashr_i32 s10, s10, 2
	global_load_dword v11, v[2:3], off
	v_add_u32_e32 v2, s10, v4
	v_ashrrev_i32_e32 v3, 31, v2
	v_lshl_add_u64 v[2:3], v[2:3], 2, s[8:9]
	global_load_dword v12, v[2:3], off
	v_add_u32_e32 v2, s3, v1
	v_add_u32_e32 v4, s2, v1
	v_ashrrev_i32_e32 v5, 31, v4
	v_ashrrev_i32_e32 v3, 31, v2
	v_lshl_add_u64 v[4:5], v[4:5], 1, s[6:7]
	v_lshl_add_u64 v[2:3], v[2:3], 1, s[6:7]
	global_load_ushort v13, v[4:5], off
	global_load_ushort v14, v[2:3], off
	v_add_u32_e32 v2, s5, v1
	v_add_u32_e32 v4, s4, v1
	v_ashrrev_i32_e32 v5, 31, v4
	v_ashrrev_i32_e32 v3, 31, v2
	v_lshl_add_u64 v[4:5], v[4:5], 1, s[6:7]
	v_lshl_add_u64 v[2:3], v[2:3], 1, s[6:7]
	global_load_ushort v15, v[4:5], off
	global_load_ushort v16, v[2:3], off
	v_lshlrev_b32_e32 v0, 3, v0
	s_xor_b64 s[2:3], s[18:19], -1
	v_and_b32_e32 v17, 24, v0
	v_cndmask_b32_e64 v18, 0, 1, s[2:3]
	s_load_dwordx2 s[0:1], s[0:1], 0x30
	s_mul_i32 s4, s16, s20
	v_add_u32_e32 v0, s4, v1
	s_ashr_i32 s17, s16, 31
	v_ashrrev_i32_e32 v1, 31, v0
	s_lshl_b64 s[2:3], s[16:17], 1
	s_waitcnt lgkmcnt(0)
	v_lshl_add_u64 v[0:1], v[0:1], 1, s[0:1]
	v_lshl_add_u64 v[2:3], v[0:1], 0, s[2:3]
	;; [unrolled: 1-line block ×4, first 2 shown]
	s_waitcnt vmcnt(8)
	v_sub_u32_sdwa v19, v8, v18 dst_sel:DWORD dst_unused:UNUSED_PAD src0_sel:BYTE_0 src1_sel:DWORD
	v_sub_u32_sdwa v20, v8, v18 dst_sel:DWORD dst_unused:UNUSED_PAD src0_sel:BYTE_1 src1_sel:DWORD
	v_sub_u32_sdwa v21, v8, v18 dst_sel:DWORD dst_unused:UNUSED_PAD src0_sel:BYTE_2 src1_sel:DWORD
	v_sub_u32_sdwa v8, v8, v18 dst_sel:DWORD dst_unused:UNUSED_PAD src0_sel:BYTE_3 src1_sel:DWORD
	s_waitcnt vmcnt(7)
	v_bfe_u32 v9, v9, v17, 8
	v_sub_u32_e32 v9, v19, v9
	v_cvt_f32_i32_e32 v9, v9
	v_cvt_f16_f32_e32 v9, v9
	s_waitcnt vmcnt(6)
	v_bfe_u32 v10, v10, v17, 8
	v_sub_u32_e32 v10, v20, v10
	v_cvt_f32_i32_e32 v10, v10
	v_cvt_f16_f32_e32 v10, v10
	s_waitcnt vmcnt(5)
	v_bfe_u32 v11, v11, v17, 8
	v_sub_u32_e32 v11, v21, v11
	v_cvt_f32_i32_e32 v11, v11
	s_waitcnt vmcnt(4)
	v_bfe_u32 v12, v12, v17, 8
	v_sub_u32_e32 v8, v8, v12
	v_cvt_f32_i32_e32 v8, v8
	v_cvt_f16_f32_e32 v11, v11
	v_cvt_f16_f32_e32 v8, v8
	s_waitcnt vmcnt(3)
	v_mul_f16_e32 v9, v13, v9
	s_waitcnt vmcnt(2)
	v_mul_f16_e32 v10, v14, v10
	;; [unrolled: 2-line block ×4, first 2 shown]
	global_store_short v[0:1], v9, off
	global_store_short v[2:3], v10, off
	;; [unrolled: 1-line block ×4, first 2 shown]
.LBB49_2:
	s_endpgm
	.section	.rodata,"a",@progbits
	.p2align	6, 0x0
	.amdhsa_kernel _ZN4vllm4gptq23reconstruct_gptq_kernelINS0_17MatrixView_q8_rowELi8EEEvPKjPK6__halfS4_PKiiiibPS5_
		.amdhsa_group_segment_fixed_size 0
		.amdhsa_private_segment_fixed_size 0
		.amdhsa_kernarg_size 56
		.amdhsa_user_sgpr_count 2
		.amdhsa_user_sgpr_dispatch_ptr 0
		.amdhsa_user_sgpr_queue_ptr 0
		.amdhsa_user_sgpr_kernarg_segment_ptr 1
		.amdhsa_user_sgpr_dispatch_id 0
		.amdhsa_user_sgpr_kernarg_preload_length 0
		.amdhsa_user_sgpr_kernarg_preload_offset 0
		.amdhsa_user_sgpr_private_segment_size 0
		.amdhsa_uses_dynamic_stack 0
		.amdhsa_enable_private_segment 0
		.amdhsa_system_sgpr_workgroup_id_x 1
		.amdhsa_system_sgpr_workgroup_id_y 1
		.amdhsa_system_sgpr_workgroup_id_z 0
		.amdhsa_system_sgpr_workgroup_info 0
		.amdhsa_system_vgpr_workitem_id 0
		.amdhsa_next_free_vgpr 22
		.amdhsa_next_free_sgpr 21
		.amdhsa_accum_offset 24
		.amdhsa_reserve_vcc 1
		.amdhsa_float_round_mode_32 0
		.amdhsa_float_round_mode_16_64 0
		.amdhsa_float_denorm_mode_32 3
		.amdhsa_float_denorm_mode_16_64 3
		.amdhsa_dx10_clamp 1
		.amdhsa_ieee_mode 1
		.amdhsa_fp16_overflow 0
		.amdhsa_tg_split 0
		.amdhsa_exception_fp_ieee_invalid_op 0
		.amdhsa_exception_fp_denorm_src 0
		.amdhsa_exception_fp_ieee_div_zero 0
		.amdhsa_exception_fp_ieee_overflow 0
		.amdhsa_exception_fp_ieee_underflow 0
		.amdhsa_exception_fp_ieee_inexact 0
		.amdhsa_exception_int_div_zero 0
	.end_amdhsa_kernel
	.section	.text._ZN4vllm4gptq23reconstruct_gptq_kernelINS0_17MatrixView_q8_rowELi8EEEvPKjPK6__halfS4_PKiiiibPS5_,"axG",@progbits,_ZN4vllm4gptq23reconstruct_gptq_kernelINS0_17MatrixView_q8_rowELi8EEEvPKjPK6__halfS4_PKiiiibPS5_,comdat
.Lfunc_end49:
	.size	_ZN4vllm4gptq23reconstruct_gptq_kernelINS0_17MatrixView_q8_rowELi8EEEvPKjPK6__halfS4_PKiiiibPS5_, .Lfunc_end49-_ZN4vllm4gptq23reconstruct_gptq_kernelINS0_17MatrixView_q8_rowELi8EEEvPKjPK6__halfS4_PKiiiibPS5_
                                        ; -- End function
	.set _ZN4vllm4gptq23reconstruct_gptq_kernelINS0_17MatrixView_q8_rowELi8EEEvPKjPK6__halfS4_PKiiiibPS5_.num_vgpr, 22
	.set _ZN4vllm4gptq23reconstruct_gptq_kernelINS0_17MatrixView_q8_rowELi8EEEvPKjPK6__halfS4_PKiiiibPS5_.num_agpr, 0
	.set _ZN4vllm4gptq23reconstruct_gptq_kernelINS0_17MatrixView_q8_rowELi8EEEvPKjPK6__halfS4_PKiiiibPS5_.numbered_sgpr, 21
	.set _ZN4vllm4gptq23reconstruct_gptq_kernelINS0_17MatrixView_q8_rowELi8EEEvPKjPK6__halfS4_PKiiiibPS5_.num_named_barrier, 0
	.set _ZN4vllm4gptq23reconstruct_gptq_kernelINS0_17MatrixView_q8_rowELi8EEEvPKjPK6__halfS4_PKiiiibPS5_.private_seg_size, 0
	.set _ZN4vllm4gptq23reconstruct_gptq_kernelINS0_17MatrixView_q8_rowELi8EEEvPKjPK6__halfS4_PKiiiibPS5_.uses_vcc, 1
	.set _ZN4vllm4gptq23reconstruct_gptq_kernelINS0_17MatrixView_q8_rowELi8EEEvPKjPK6__halfS4_PKiiiibPS5_.uses_flat_scratch, 0
	.set _ZN4vllm4gptq23reconstruct_gptq_kernelINS0_17MatrixView_q8_rowELi8EEEvPKjPK6__halfS4_PKiiiibPS5_.has_dyn_sized_stack, 0
	.set _ZN4vllm4gptq23reconstruct_gptq_kernelINS0_17MatrixView_q8_rowELi8EEEvPKjPK6__halfS4_PKiiiibPS5_.has_recursion, 0
	.set _ZN4vllm4gptq23reconstruct_gptq_kernelINS0_17MatrixView_q8_rowELi8EEEvPKjPK6__halfS4_PKiiiibPS5_.has_indirect_call, 0
	.section	.AMDGPU.csdata,"",@progbits
; Kernel info:
; codeLenInByte = 688
; TotalNumSgprs: 27
; NumVgprs: 22
; NumAgprs: 0
; TotalNumVgprs: 22
; ScratchSize: 0
; MemoryBound: 0
; FloatMode: 240
; IeeeMode: 1
; LDSByteSize: 0 bytes/workgroup (compile time only)
; SGPRBlocks: 3
; VGPRBlocks: 2
; NumSGPRsForWavesPerEU: 27
; NumVGPRsForWavesPerEU: 22
; AccumOffset: 24
; Occupancy: 8
; WaveLimiterHint : 0
; COMPUTE_PGM_RSRC2:SCRATCH_EN: 0
; COMPUTE_PGM_RSRC2:USER_SGPR: 2
; COMPUTE_PGM_RSRC2:TRAP_HANDLER: 0
; COMPUTE_PGM_RSRC2:TGID_X_EN: 1
; COMPUTE_PGM_RSRC2:TGID_Y_EN: 1
; COMPUTE_PGM_RSRC2:TGID_Z_EN: 0
; COMPUTE_PGM_RSRC2:TIDIG_COMP_CNT: 0
; COMPUTE_PGM_RSRC3_GFX90A:ACCUM_OFFSET: 5
; COMPUTE_PGM_RSRC3_GFX90A:TG_SPLIT: 0
	.text
	.p2alignl 6, 3212836864
	.fill 256, 4, 3212836864
	.section	.AMDGPU.gpr_maximums,"",@progbits
	.set amdgpu.max_num_vgpr, 0
	.set amdgpu.max_num_agpr, 0
	.set amdgpu.max_num_sgpr, 0
	.text
	.type	__hip_cuid_9e986f0f7eab6567,@object ; @__hip_cuid_9e986f0f7eab6567
	.section	.bss,"aw",@nobits
	.globl	__hip_cuid_9e986f0f7eab6567
__hip_cuid_9e986f0f7eab6567:
	.byte	0                               ; 0x0
	.size	__hip_cuid_9e986f0f7eab6567, 1

	.ident	"AMD clang version 22.0.0git (https://github.com/RadeonOpenCompute/llvm-project roc-7.2.4 26084 f58b06dce1f9c15707c5f808fd002e18c2accf7e)"
	.section	".note.GNU-stack","",@progbits
	.addrsig
	.addrsig_sym __hip_cuid_9e986f0f7eab6567
	.amdgpu_metadata
---
amdhsa.kernels:
  - .agpr_count:     0
    .args:
      - .actual_access:  read_only
        .address_space:  global
        .offset:         0
        .size:           8
        .value_kind:     global_buffer
      - .actual_access:  read_only
        .address_space:  global
        .offset:         8
        .size:           8
        .value_kind:     global_buffer
      - .actual_access:  read_only
        .address_space:  global
        .offset:         16
        .size:           8
        .value_kind:     global_buffer
      - .actual_access:  read_only
        .address_space:  global
        .offset:         24
        .size:           8
        .value_kind:     global_buffer
      - .offset:         32
        .size:           4
        .value_kind:     by_value
      - .offset:         36
        .size:           4
        .value_kind:     by_value
      - .offset:         40
        .size:           4
        .value_kind:     by_value
      - .offset:         44
        .size:           1
        .value_kind:     by_value
      - .actual_access:  write_only
        .address_space:  global
        .offset:         48
        .size:           8
        .value_kind:     global_buffer
    .group_segment_fixed_size: 512
    .kernarg_segment_align: 8
    .kernarg_segment_size: 56
    .language:       OpenCL C
    .language_version:
      - 2
      - 0
    .max_flat_workgroup_size: 1024
    .name:           _ZN4vllm4gptq31reconstruct_exllama_8bit_kernelEPKjPKiS2_PK6__halfiiibPS5_
    .private_segment_fixed_size: 0
    .sgpr_count:     60
    .sgpr_spill_count: 0
    .symbol:         _ZN4vllm4gptq31reconstruct_exllama_8bit_kernelEPKjPKiS2_PK6__halfiiibPS5_.kd
    .uniform_work_group_size: 1
    .uses_dynamic_stack: false
    .vgpr_count:     58
    .vgpr_spill_count: 0
    .wavefront_size: 64
  - .agpr_count:     0
    .args:
      - .actual_access:  read_only
        .address_space:  global
        .offset:         0
        .size:           8
        .value_kind:     global_buffer
      - .actual_access:  read_only
        .address_space:  global
        .offset:         8
        .size:           8
        .value_kind:     global_buffer
      - .actual_access:  read_only
        .address_space:  global
        .offset:         16
        .size:           8
        .value_kind:     global_buffer
      - .actual_access:  read_only
        .address_space:  global
        .offset:         24
        .size:           8
        .value_kind:     global_buffer
      - .offset:         32
        .size:           4
        .value_kind:     by_value
      - .offset:         36
        .size:           4
        .value_kind:     by_value
      - .offset:         40
        .size:           4
        .value_kind:     by_value
      - .offset:         44
        .size:           1
        .value_kind:     by_value
      - .actual_access:  write_only
        .address_space:  global
        .offset:         48
        .size:           8
        .value_kind:     global_buffer
    .group_segment_fixed_size: 512
    .kernarg_segment_align: 8
    .kernarg_segment_size: 56
    .language:       OpenCL C
    .language_version:
      - 2
      - 0
    .max_flat_workgroup_size: 1024
    .name:           _ZN4vllm4gptq31reconstruct_exllama_4bit_kernelEPKjPKiS2_PK6__halfiiibPS5_
    .private_segment_fixed_size: 0
    .sgpr_count:     62
    .sgpr_spill_count: 0
    .symbol:         _ZN4vllm4gptq31reconstruct_exllama_4bit_kernelEPKjPKiS2_PK6__halfiiibPS5_.kd
    .uniform_work_group_size: 1
    .uses_dynamic_stack: false
    .vgpr_count:     58
    .vgpr_spill_count: 0
    .wavefront_size: 64
  - .agpr_count:     0
    .args:
      - .actual_access:  read_only
        .address_space:  global
        .offset:         0
        .size:           8
        .value_kind:     global_buffer
      - .actual_access:  read_only
        .address_space:  global
        .offset:         8
        .size:           8
        .value_kind:     global_buffer
      - .actual_access:  read_only
        .address_space:  global
        .offset:         16
        .size:           8
        .value_kind:     global_buffer
      - .actual_access:  read_only
        .address_space:  global
        .offset:         24
        .size:           8
        .value_kind:     global_buffer
      - .offset:         32
        .size:           4
        .value_kind:     by_value
      - .offset:         36
        .size:           4
        .value_kind:     by_value
      - .offset:         40
        .size:           4
        .value_kind:     by_value
      - .offset:         44
        .size:           1
        .value_kind:     by_value
      - .actual_access:  write_only
        .address_space:  global
        .offset:         48
        .size:           8
        .value_kind:     global_buffer
    .group_segment_fixed_size: 512
    .kernarg_segment_align: 8
    .kernarg_segment_size: 56
    .language:       OpenCL C
    .language_version:
      - 2
      - 0
    .max_flat_workgroup_size: 1024
    .name:           _ZN4vllm4gptq31reconstruct_exllama_3bit_kernelEPKjPKiS2_PK6__halfiiibPS5_
    .private_segment_fixed_size: 0
    .sgpr_count:     80
    .sgpr_spill_count: 0
    .symbol:         _ZN4vllm4gptq31reconstruct_exllama_3bit_kernelEPKjPKiS2_PK6__halfiiibPS5_.kd
    .uniform_work_group_size: 1
    .uses_dynamic_stack: false
    .vgpr_count:     123
    .vgpr_spill_count: 0
    .wavefront_size: 64
  - .agpr_count:     0
    .args:
      - .actual_access:  read_only
        .address_space:  global
        .offset:         0
        .size:           8
        .value_kind:     global_buffer
      - .actual_access:  read_only
        .address_space:  global
        .offset:         8
        .size:           8
        .value_kind:     global_buffer
      - .actual_access:  read_only
        .address_space:  global
        .offset:         16
        .size:           8
        .value_kind:     global_buffer
      - .actual_access:  read_only
        .address_space:  global
        .offset:         24
        .size:           8
        .value_kind:     global_buffer
      - .offset:         32
        .size:           4
        .value_kind:     by_value
      - .offset:         36
        .size:           4
        .value_kind:     by_value
      - .offset:         40
        .size:           4
        .value_kind:     by_value
      - .offset:         44
        .size:           1
        .value_kind:     by_value
      - .actual_access:  write_only
        .address_space:  global
        .offset:         48
        .size:           8
        .value_kind:     global_buffer
    .group_segment_fixed_size: 512
    .kernarg_segment_align: 8
    .kernarg_segment_size: 56
    .language:       OpenCL C
    .language_version:
      - 2
      - 0
    .max_flat_workgroup_size: 1024
    .name:           _ZN4vllm4gptq31reconstruct_exllama_2bit_kernelEPKjPKiS2_PK6__halfiiibPS5_
    .private_segment_fixed_size: 0
    .sgpr_count:     63
    .sgpr_spill_count: 0
    .symbol:         _ZN4vllm4gptq31reconstruct_exllama_2bit_kernelEPKjPKiS2_PK6__halfiiibPS5_.kd
    .uniform_work_group_size: 1
    .uses_dynamic_stack: false
    .vgpr_count:     102
    .vgpr_spill_count: 0
    .wavefront_size: 64
  - .agpr_count:     0
    .args:
      - .actual_access:  read_only
        .address_space:  global
        .offset:         0
        .size:           8
        .value_kind:     global_buffer
      - .actual_access:  read_only
        .address_space:  global
        .offset:         8
        .size:           8
        .value_kind:     global_buffer
      - .address_space:  global
        .offset:         16
        .size:           8
        .value_kind:     global_buffer
      - .actual_access:  read_only
        .address_space:  global
        .offset:         24
        .size:           8
        .value_kind:     global_buffer
      - .actual_access:  read_only
        .address_space:  global
        .offset:         32
        .size:           8
        .value_kind:     global_buffer
      - .actual_access:  read_only
        .address_space:  global
        .offset:         40
        .size:           8
        .value_kind:     global_buffer
      - .offset:         48
        .size:           4
        .value_kind:     by_value
      - .offset:         52
        .size:           4
        .value_kind:     by_value
      - .offset:         56
        .size:           4
        .value_kind:     by_value
      - .offset:         60
        .size:           1
        .value_kind:     by_value
    .group_segment_fixed_size: 26624
    .kernarg_segment_align: 8
    .kernarg_segment_size: 64
    .language:       OpenCL C
    .language_version:
      - 2
      - 0
    .max_flat_workgroup_size: 1024
    .name:           _ZN4vllm4gptq32gemm_half_q_half_alt_4bit_kernelEPK7__half2PKjP6__halfPKS6_S5_PKiiiib
    .private_segment_fixed_size: 0
    .sgpr_count:     43
    .sgpr_spill_count: 0
    .symbol:         _ZN4vllm4gptq32gemm_half_q_half_alt_4bit_kernelEPK7__half2PKjP6__halfPKS6_S5_PKiiiib.kd
    .uniform_work_group_size: 1
    .uses_dynamic_stack: false
    .vgpr_count:     29
    .vgpr_spill_count: 0
    .wavefront_size: 64
  - .agpr_count:     0
    .args:
      - .actual_access:  read_only
        .address_space:  global
        .offset:         0
        .size:           8
        .value_kind:     global_buffer
      - .actual_access:  read_only
        .address_space:  global
        .offset:         8
        .size:           8
        .value_kind:     global_buffer
      - .address_space:  global
        .offset:         16
        .size:           8
        .value_kind:     global_buffer
      - .actual_access:  read_only
        .address_space:  global
        .offset:         24
        .size:           8
        .value_kind:     global_buffer
      - .actual_access:  read_only
        .address_space:  global
        .offset:         32
        .size:           8
        .value_kind:     global_buffer
      - .actual_access:  read_only
        .address_space:  global
        .offset:         40
        .size:           8
        .value_kind:     global_buffer
      - .offset:         48
        .size:           4
        .value_kind:     by_value
      - .offset:         52
        .size:           4
        .value_kind:     by_value
      - .offset:         56
        .size:           4
        .value_kind:     by_value
      - .offset:         60
        .size:           1
        .value_kind:     by_value
    .group_segment_fixed_size: 18432
    .kernarg_segment_align: 8
    .kernarg_segment_size: 64
    .language:       OpenCL C
    .language_version:
      - 2
      - 0
    .max_flat_workgroup_size: 1024
    .name:           _ZN4vllm4gptq32gemm_half_q_half_alt_8bit_kernelEPK7__half2PKjP6__halfPKS6_S5_PKiiiib
    .private_segment_fixed_size: 0
    .sgpr_count:     38
    .sgpr_spill_count: 0
    .symbol:         _ZN4vllm4gptq32gemm_half_q_half_alt_8bit_kernelEPK7__half2PKjP6__halfPKS6_S5_PKiiiib.kd
    .uniform_work_group_size: 1
    .uses_dynamic_stack: false
    .vgpr_count:     22
    .vgpr_spill_count: 0
    .wavefront_size: 64
  - .agpr_count:     0
    .args:
      - .actual_access:  read_only
        .address_space:  global
        .offset:         0
        .size:           8
        .value_kind:     global_buffer
      - .actual_access:  read_only
        .address_space:  global
        .offset:         8
        .size:           8
        .value_kind:     global_buffer
      - .actual_access:  read_only
        .address_space:  global
        .offset:         16
        .size:           8
        .value_kind:     global_buffer
      - .actual_access:  read_only
        .address_space:  global
        .offset:         24
        .size:           8
        .value_kind:     global_buffer
      - .offset:         32
        .size:           4
        .value_kind:     by_value
      - .offset:         36
        .size:           4
        .value_kind:     by_value
      - .offset:         40
        .size:           4
        .value_kind:     by_value
      - .offset:         44
        .size:           1
        .value_kind:     by_value
      - .actual_access:  write_only
        .address_space:  global
        .offset:         48
        .size:           8
        .value_kind:     global_buffer
    .group_segment_fixed_size: 0
    .kernarg_segment_align: 8
    .kernarg_segment_size: 56
    .language:       OpenCL C
    .language_version:
      - 2
      - 0
    .max_flat_workgroup_size: 1024
    .name:           _ZN4vllm4gptq28reconstruct_gptq_3bit_kernelEPKjPK6__halfS2_PKiiiibPS3_
    .private_segment_fixed_size: 0
    .sgpr_count:     33
    .sgpr_spill_count: 0
    .symbol:         _ZN4vllm4gptq28reconstruct_gptq_3bit_kernelEPKjPK6__halfS2_PKiiiibPS3_.kd
    .uniform_work_group_size: 1
    .uses_dynamic_stack: false
    .vgpr_count:     16
    .vgpr_spill_count: 0
    .wavefront_size: 64
  - .agpr_count:     0
    .args:
      - .address_space:  global
        .offset:         0
        .size:           8
        .value_kind:     global_buffer
      - .offset:         8
        .size:           4
        .value_kind:     by_value
      - .offset:         12
        .size:           4
        .value_kind:     by_value
    .group_segment_fixed_size: 0
    .kernarg_segment_align: 8
    .kernarg_segment_size: 16
    .language:       OpenCL C
    .language_version:
      - 2
      - 0
    .max_flat_workgroup_size: 1024
    .name:           _ZN4vllm4gptq19shuffle_4bit_kernelEPjii
    .private_segment_fixed_size: 0
    .sgpr_count:     16
    .sgpr_spill_count: 0
    .symbol:         _ZN4vllm4gptq19shuffle_4bit_kernelEPjii.kd
    .uniform_work_group_size: 1
    .uses_dynamic_stack: false
    .vgpr_count:     9
    .vgpr_spill_count: 0
    .wavefront_size: 64
  - .agpr_count:     0
    .args:
      - .actual_access:  read_only
        .address_space:  global
        .offset:         0
        .size:           8
        .value_kind:     global_buffer
      - .offset:         8
        .size:           4
        .value_kind:     by_value
      - .offset:         12
        .size:           4
        .value_kind:     by_value
    .group_segment_fixed_size: 0
    .kernarg_segment_align: 8
    .kernarg_segment_size: 16
    .language:       OpenCL C
    .language_version:
      - 2
      - 0
    .max_flat_workgroup_size: 1024
    .name:           _ZN4vllm4gptq19shuffle_8bit_kernelEPjii
    .private_segment_fixed_size: 0
    .sgpr_count:     6
    .sgpr_spill_count: 0
    .symbol:         _ZN4vllm4gptq19shuffle_8bit_kernelEPjii.kd
    .uniform_work_group_size: 1
    .uses_dynamic_stack: false
    .vgpr_count:     0
    .vgpr_spill_count: 0
    .wavefront_size: 64
  - .agpr_count:     0
    .args:
      - .address_space:  global
        .offset:         0
        .size:           8
        .value_kind:     global_buffer
      - .offset:         8
        .size:           4
        .value_kind:     by_value
      - .offset:         12
        .size:           4
        .value_kind:     by_value
    .group_segment_fixed_size: 0
    .kernarg_segment_align: 8
    .kernarg_segment_size: 16
    .language:       OpenCL C
    .language_version:
      - 2
      - 0
    .max_flat_workgroup_size: 1024
    .name:           _ZN4vllm4gptq19shuffle_2bit_kernelEPjii
    .private_segment_fixed_size: 0
    .sgpr_count:     16
    .sgpr_spill_count: 0
    .symbol:         _ZN4vllm4gptq19shuffle_2bit_kernelEPjii.kd
    .uniform_work_group_size: 1
    .uses_dynamic_stack: false
    .vgpr_count:     17
    .vgpr_spill_count: 0
    .wavefront_size: 64
  - .agpr_count:     0
    .args:
      - .address_space:  global
        .offset:         0
        .size:           8
        .value_kind:     global_buffer
      - .offset:         8
        .size:           4
        .value_kind:     by_value
      - .offset:         12
        .size:           4
        .value_kind:     by_value
    .group_segment_fixed_size: 0
    .kernarg_segment_align: 8
    .kernarg_segment_size: 16
    .language:       OpenCL C
    .language_version:
      - 2
      - 0
    .max_flat_workgroup_size: 1024
    .name:           _ZN4vllm4gptq19shuffle_3bit_kernelEPjii
    .private_segment_fixed_size: 0
    .sgpr_count:     17
    .sgpr_spill_count: 0
    .symbol:         _ZN4vllm4gptq19shuffle_3bit_kernelEPjii.kd
    .uniform_work_group_size: 1
    .uses_dynamic_stack: false
    .vgpr_count:     39
    .vgpr_spill_count: 0
    .wavefront_size: 64
  - .agpr_count:     0
    .args:
      - .actual_access:  read_only
        .address_space:  global
        .offset:         0
        .size:           8
        .value_kind:     global_buffer
      - .actual_access:  write_only
        .address_space:  global
        .offset:         8
        .size:           8
        .value_kind:     global_buffer
      - .actual_access:  read_only
        .address_space:  global
        .offset:         16
        .size:           8
        .value_kind:     global_buffer
      - .offset:         24
        .size:           4
        .value_kind:     by_value
    .group_segment_fixed_size: 0
    .kernarg_segment_align: 8
    .kernarg_segment_size: 28
    .language:       OpenCL C
    .language_version:
      - 2
      - 0
    .max_flat_workgroup_size: 1024
    .name:           _ZN4vllm4gptq27make_sequential_4bit_kernelEPKjPjPKii
    .private_segment_fixed_size: 0
    .sgpr_count:     26
    .sgpr_spill_count: 0
    .symbol:         _ZN4vllm4gptq27make_sequential_4bit_kernelEPKjPjPKii.kd
    .uniform_work_group_size: 1
    .uses_dynamic_stack: false
    .vgpr_count:     20
    .vgpr_spill_count: 0
    .wavefront_size: 64
  - .agpr_count:     0
    .args:
      - .actual_access:  read_only
        .address_space:  global
        .offset:         0
        .size:           8
        .value_kind:     global_buffer
      - .actual_access:  write_only
        .address_space:  global
        .offset:         8
        .size:           8
        .value_kind:     global_buffer
      - .actual_access:  read_only
        .address_space:  global
        .offset:         16
        .size:           8
        .value_kind:     global_buffer
      - .offset:         24
        .size:           4
        .value_kind:     by_value
    .group_segment_fixed_size: 0
    .kernarg_segment_align: 8
    .kernarg_segment_size: 28
    .language:       OpenCL C
    .language_version:
      - 2
      - 0
    .max_flat_workgroup_size: 1024
    .name:           _ZN4vllm4gptq27make_sequential_2bit_kernelEPKjPjPKii
    .private_segment_fixed_size: 0
    .sgpr_count:     35
    .sgpr_spill_count: 0
    .symbol:         _ZN4vllm4gptq27make_sequential_2bit_kernelEPKjPjPKii.kd
    .uniform_work_group_size: 1
    .uses_dynamic_stack: false
    .vgpr_count:     32
    .vgpr_spill_count: 0
    .wavefront_size: 64
  - .agpr_count:     0
    .args:
      - .actual_access:  read_only
        .address_space:  global
        .offset:         0
        .size:           8
        .value_kind:     global_buffer
      - .actual_access:  write_only
        .address_space:  global
        .offset:         8
        .size:           8
        .value_kind:     global_buffer
      - .actual_access:  read_only
        .address_space:  global
        .offset:         16
        .size:           8
        .value_kind:     global_buffer
      - .offset:         24
        .size:           4
        .value_kind:     by_value
    .group_segment_fixed_size: 0
    .kernarg_segment_align: 8
    .kernarg_segment_size: 28
    .language:       OpenCL C
    .language_version:
      - 2
      - 0
    .max_flat_workgroup_size: 1024
    .name:           _ZN4vllm4gptq27make_sequential_3bit_kernelEPKjPjPKii
    .private_segment_fixed_size: 0
    .sgpr_count:     23
    .sgpr_spill_count: 0
    .symbol:         _ZN4vllm4gptq27make_sequential_3bit_kernelEPKjPjPKii.kd
    .uniform_work_group_size: 1
    .uses_dynamic_stack: false
    .vgpr_count:     38
    .vgpr_spill_count: 0
    .wavefront_size: 64
  - .agpr_count:     0
    .args:
      - .actual_access:  read_only
        .address_space:  global
        .offset:         0
        .size:           8
        .value_kind:     global_buffer
      - .actual_access:  write_only
        .address_space:  global
        .offset:         8
        .size:           8
        .value_kind:     global_buffer
      - .actual_access:  read_only
        .address_space:  global
        .offset:         16
        .size:           8
        .value_kind:     global_buffer
      - .offset:         24
        .size:           4
        .value_kind:     by_value
    .group_segment_fixed_size: 0
    .kernarg_segment_align: 8
    .kernarg_segment_size: 28
    .language:       OpenCL C
    .language_version:
      - 2
      - 0
    .max_flat_workgroup_size: 1024
    .name:           _ZN4vllm4gptq27make_sequential_8bit_kernelEPKjPjPKii
    .private_segment_fixed_size: 0
    .sgpr_count:     22
    .sgpr_spill_count: 0
    .symbol:         _ZN4vllm4gptq27make_sequential_8bit_kernelEPKjPjPKii.kd
    .uniform_work_group_size: 1
    .uses_dynamic_stack: false
    .vgpr_count:     16
    .vgpr_spill_count: 0
    .wavefront_size: 64
  - .agpr_count:     0
    .args:
      - .actual_access:  read_only
        .address_space:  global
        .offset:         0
        .size:           8
        .value_kind:     global_buffer
      - .actual_access:  read_only
        .address_space:  global
        .offset:         8
        .size:           8
        .value_kind:     global_buffer
      - .actual_access:  read_only
        .address_space:  global
        .offset:         16
        .size:           8
        .value_kind:     global_buffer
      - .actual_access:  read_only
        .address_space:  global
        .offset:         24
        .size:           8
        .value_kind:     global_buffer
      - .address_space:  global
        .offset:         32
        .size:           8
        .value_kind:     global_buffer
      - .offset:         40
        .size:           4
        .value_kind:     by_value
      - .offset:         44
        .size:           4
        .value_kind:     by_value
      - .offset:         48
        .size:           4
        .value_kind:     by_value
      - .offset:         52
        .size:           4
        .value_kind:     by_value
      - .offset:         56
        .size:           1
        .value_kind:     by_value
      - .actual_access:  read_only
        .address_space:  global
        .offset:         64
        .size:           8
        .value_kind:     global_buffer
    .group_segment_fixed_size: 256
    .kernarg_segment_align: 8
    .kernarg_segment_size: 72
    .language:       OpenCL C
    .language_version:
      - 2
      - 0
    .max_flat_workgroup_size: 1024
    .name:           _ZN4vllm4gptq33gemm_half_q_half_gptq_2bit_kernelILb1ELi1EEEvPK6__halfPKjS6_S4_PS2_iiiibPKi
    .private_segment_fixed_size: 0
    .sgpr_count:     30
    .sgpr_spill_count: 0
    .symbol:         _ZN4vllm4gptq33gemm_half_q_half_gptq_2bit_kernelILb1ELi1EEEvPK6__halfPKjS6_S4_PS2_iiiibPKi.kd
    .uniform_work_group_size: 1
    .uses_dynamic_stack: false
    .vgpr_count:     56
    .vgpr_spill_count: 0
    .wavefront_size: 64
  - .agpr_count:     0
    .args:
      - .actual_access:  read_only
        .address_space:  global
        .offset:         0
        .size:           8
        .value_kind:     global_buffer
      - .actual_access:  read_only
        .address_space:  global
        .offset:         8
        .size:           8
        .value_kind:     global_buffer
      - .actual_access:  read_only
        .address_space:  global
        .offset:         16
        .size:           8
        .value_kind:     global_buffer
      - .actual_access:  read_only
        .address_space:  global
        .offset:         24
        .size:           8
        .value_kind:     global_buffer
      - .address_space:  global
        .offset:         32
        .size:           8
        .value_kind:     global_buffer
      - .offset:         40
        .size:           4
        .value_kind:     by_value
      - .offset:         44
        .size:           4
        .value_kind:     by_value
      - .offset:         48
        .size:           4
        .value_kind:     by_value
      - .offset:         52
        .size:           4
        .value_kind:     by_value
      - .offset:         56
        .size:           1
        .value_kind:     by_value
      - .actual_access:  read_only
        .address_space:  global
        .offset:         64
        .size:           8
        .value_kind:     global_buffer
    .group_segment_fixed_size: 256
    .kernarg_segment_align: 8
    .kernarg_segment_size: 72
    .language:       OpenCL C
    .language_version:
      - 2
      - 0
    .max_flat_workgroup_size: 1024
    .name:           _ZN4vllm4gptq33gemm_half_q_half_gptq_3bit_kernelILb1ELi1EEEvPK6__halfPKjS6_S4_PS2_iiiibPKi
    .private_segment_fixed_size: 0
    .sgpr_count:     46
    .sgpr_spill_count: 0
    .symbol:         _ZN4vllm4gptq33gemm_half_q_half_gptq_3bit_kernelILb1ELi1EEEvPK6__halfPKjS6_S4_PS2_iiiibPKi.kd
    .uniform_work_group_size: 1
    .uses_dynamic_stack: false
    .vgpr_count:     94
    .vgpr_spill_count: 0
    .wavefront_size: 64
  - .agpr_count:     0
    .args:
      - .actual_access:  read_only
        .address_space:  global
        .offset:         0
        .size:           8
        .value_kind:     global_buffer
      - .actual_access:  read_only
        .address_space:  global
        .offset:         8
        .size:           8
        .value_kind:     global_buffer
      - .actual_access:  read_only
        .address_space:  global
        .offset:         16
        .size:           8
        .value_kind:     global_buffer
      - .actual_access:  read_only
        .address_space:  global
        .offset:         24
        .size:           8
        .value_kind:     global_buffer
      - .address_space:  global
        .offset:         32
        .size:           8
        .value_kind:     global_buffer
      - .offset:         40
        .size:           4
        .value_kind:     by_value
      - .offset:         44
        .size:           4
        .value_kind:     by_value
      - .offset:         48
        .size:           4
        .value_kind:     by_value
      - .offset:         52
        .size:           4
        .value_kind:     by_value
      - .offset:         56
        .size:           1
        .value_kind:     by_value
      - .actual_access:  read_only
        .address_space:  global
        .offset:         64
        .size:           8
        .value_kind:     global_buffer
    .group_segment_fixed_size: 256
    .kernarg_segment_align: 8
    .kernarg_segment_size: 72
    .language:       OpenCL C
    .language_version:
      - 2
      - 0
    .max_flat_workgroup_size: 1024
    .name:           _ZN4vllm4gptq33gemm_half_q_half_gptq_4bit_kernelILb1ELi1EEEvPK6__halfPKjS6_S4_PS2_iiiibPKi
    .private_segment_fixed_size: 0
    .sgpr_count:     30
    .sgpr_spill_count: 0
    .symbol:         _ZN4vllm4gptq33gemm_half_q_half_gptq_4bit_kernelILb1ELi1EEEvPK6__halfPKjS6_S4_PS2_iiiibPKi.kd
    .uniform_work_group_size: 1
    .uses_dynamic_stack: false
    .vgpr_count:     61
    .vgpr_spill_count: 0
    .wavefront_size: 64
  - .agpr_count:     0
    .args:
      - .actual_access:  read_only
        .address_space:  global
        .offset:         0
        .size:           8
        .value_kind:     global_buffer
      - .actual_access:  read_only
        .address_space:  global
        .offset:         8
        .size:           8
        .value_kind:     global_buffer
      - .actual_access:  read_only
        .address_space:  global
        .offset:         16
        .size:           8
        .value_kind:     global_buffer
      - .actual_access:  read_only
        .address_space:  global
        .offset:         24
        .size:           8
        .value_kind:     global_buffer
      - .address_space:  global
        .offset:         32
        .size:           8
        .value_kind:     global_buffer
      - .offset:         40
        .size:           4
        .value_kind:     by_value
      - .offset:         44
        .size:           4
        .value_kind:     by_value
      - .offset:         48
        .size:           4
        .value_kind:     by_value
      - .offset:         52
        .size:           4
        .value_kind:     by_value
      - .offset:         56
        .size:           1
        .value_kind:     by_value
      - .actual_access:  read_only
        .address_space:  global
        .offset:         64
        .size:           8
        .value_kind:     global_buffer
    .group_segment_fixed_size: 256
    .kernarg_segment_align: 8
    .kernarg_segment_size: 72
    .language:       OpenCL C
    .language_version:
      - 2
      - 0
    .max_flat_workgroup_size: 1024
    .name:           _ZN4vllm4gptq33gemm_half_q_half_gptq_8bit_kernelILb1ELi1EEEvPK6__halfPKjS6_S4_PS2_iiiibPKi
    .private_segment_fixed_size: 0
    .sgpr_count:     30
    .sgpr_spill_count: 0
    .symbol:         _ZN4vllm4gptq33gemm_half_q_half_gptq_8bit_kernelILb1ELi1EEEvPK6__halfPKjS6_S4_PS2_iiiibPKi.kd
    .uniform_work_group_size: 1
    .uses_dynamic_stack: false
    .vgpr_count:     68
    .vgpr_spill_count: 0
    .wavefront_size: 64
  - .agpr_count:     0
    .args:
      - .actual_access:  read_only
        .address_space:  global
        .offset:         0
        .size:           8
        .value_kind:     global_buffer
      - .actual_access:  read_only
        .address_space:  global
        .offset:         8
        .size:           8
        .value_kind:     global_buffer
      - .actual_access:  read_only
        .address_space:  global
        .offset:         16
        .size:           8
        .value_kind:     global_buffer
      - .actual_access:  read_only
        .address_space:  global
        .offset:         24
        .size:           8
        .value_kind:     global_buffer
      - .address_space:  global
        .offset:         32
        .size:           8
        .value_kind:     global_buffer
      - .offset:         40
        .size:           4
        .value_kind:     by_value
      - .offset:         44
        .size:           4
        .value_kind:     by_value
      - .offset:         48
        .size:           4
        .value_kind:     by_value
      - .offset:         52
        .size:           4
        .value_kind:     by_value
      - .offset:         56
        .size:           1
        .value_kind:     by_value
      - .actual_access:  read_only
        .address_space:  global
        .offset:         64
        .size:           8
        .value_kind:     global_buffer
    .group_segment_fixed_size: 512
    .kernarg_segment_align: 8
    .kernarg_segment_size: 72
    .language:       OpenCL C
    .language_version:
      - 2
      - 0
    .max_flat_workgroup_size: 1024
    .name:           _ZN4vllm4gptq33gemm_half_q_half_gptq_2bit_kernelILb1ELi2EEEvPK6__halfPKjS6_S4_PS2_iiiibPKi
    .private_segment_fixed_size: 0
    .sgpr_count:     32
    .sgpr_spill_count: 0
    .symbol:         _ZN4vllm4gptq33gemm_half_q_half_gptq_2bit_kernelILb1ELi2EEEvPK6__halfPKjS6_S4_PS2_iiiibPKi.kd
    .uniform_work_group_size: 1
    .uses_dynamic_stack: false
    .vgpr_count:     62
    .vgpr_spill_count: 0
    .wavefront_size: 64
  - .agpr_count:     0
    .args:
      - .actual_access:  read_only
        .address_space:  global
        .offset:         0
        .size:           8
        .value_kind:     global_buffer
      - .actual_access:  read_only
        .address_space:  global
        .offset:         8
        .size:           8
        .value_kind:     global_buffer
      - .actual_access:  read_only
        .address_space:  global
        .offset:         16
        .size:           8
        .value_kind:     global_buffer
      - .actual_access:  read_only
        .address_space:  global
        .offset:         24
        .size:           8
        .value_kind:     global_buffer
      - .address_space:  global
        .offset:         32
        .size:           8
        .value_kind:     global_buffer
      - .offset:         40
        .size:           4
        .value_kind:     by_value
      - .offset:         44
        .size:           4
        .value_kind:     by_value
      - .offset:         48
        .size:           4
        .value_kind:     by_value
      - .offset:         52
        .size:           4
        .value_kind:     by_value
      - .offset:         56
        .size:           1
        .value_kind:     by_value
      - .actual_access:  read_only
        .address_space:  global
        .offset:         64
        .size:           8
        .value_kind:     global_buffer
    .group_segment_fixed_size: 512
    .kernarg_segment_align: 8
    .kernarg_segment_size: 72
    .language:       OpenCL C
    .language_version:
      - 2
      - 0
    .max_flat_workgroup_size: 1024
    .name:           _ZN4vllm4gptq33gemm_half_q_half_gptq_3bit_kernelILb1ELi2EEEvPK6__halfPKjS6_S4_PS2_iiiibPKi
    .private_segment_fixed_size: 0
    .sgpr_count:     46
    .sgpr_spill_count: 0
    .symbol:         _ZN4vllm4gptq33gemm_half_q_half_gptq_3bit_kernelILb1ELi2EEEvPK6__halfPKjS6_S4_PS2_iiiibPKi.kd
    .uniform_work_group_size: 1
    .uses_dynamic_stack: false
    .vgpr_count:     110
    .vgpr_spill_count: 0
    .wavefront_size: 64
  - .agpr_count:     0
    .args:
      - .actual_access:  read_only
        .address_space:  global
        .offset:         0
        .size:           8
        .value_kind:     global_buffer
      - .actual_access:  read_only
        .address_space:  global
        .offset:         8
        .size:           8
        .value_kind:     global_buffer
      - .actual_access:  read_only
        .address_space:  global
        .offset:         16
        .size:           8
        .value_kind:     global_buffer
      - .actual_access:  read_only
        .address_space:  global
        .offset:         24
        .size:           8
        .value_kind:     global_buffer
      - .address_space:  global
        .offset:         32
        .size:           8
        .value_kind:     global_buffer
      - .offset:         40
        .size:           4
        .value_kind:     by_value
      - .offset:         44
        .size:           4
        .value_kind:     by_value
      - .offset:         48
        .size:           4
        .value_kind:     by_value
      - .offset:         52
        .size:           4
        .value_kind:     by_value
      - .offset:         56
        .size:           1
        .value_kind:     by_value
      - .actual_access:  read_only
        .address_space:  global
        .offset:         64
        .size:           8
        .value_kind:     global_buffer
    .group_segment_fixed_size: 512
    .kernarg_segment_align: 8
    .kernarg_segment_size: 72
    .language:       OpenCL C
    .language_version:
      - 2
      - 0
    .max_flat_workgroup_size: 1024
    .name:           _ZN4vllm4gptq33gemm_half_q_half_gptq_4bit_kernelILb1ELi2EEEvPK6__halfPKjS6_S4_PS2_iiiibPKi
    .private_segment_fixed_size: 0
    .sgpr_count:     34
    .sgpr_spill_count: 0
    .symbol:         _ZN4vllm4gptq33gemm_half_q_half_gptq_4bit_kernelILb1ELi2EEEvPK6__halfPKjS6_S4_PS2_iiiibPKi.kd
    .uniform_work_group_size: 1
    .uses_dynamic_stack: false
    .vgpr_count:     62
    .vgpr_spill_count: 0
    .wavefront_size: 64
  - .agpr_count:     0
    .args:
      - .actual_access:  read_only
        .address_space:  global
        .offset:         0
        .size:           8
        .value_kind:     global_buffer
      - .actual_access:  read_only
        .address_space:  global
        .offset:         8
        .size:           8
        .value_kind:     global_buffer
      - .actual_access:  read_only
        .address_space:  global
        .offset:         16
        .size:           8
        .value_kind:     global_buffer
      - .actual_access:  read_only
        .address_space:  global
        .offset:         24
        .size:           8
        .value_kind:     global_buffer
      - .address_space:  global
        .offset:         32
        .size:           8
        .value_kind:     global_buffer
      - .offset:         40
        .size:           4
        .value_kind:     by_value
      - .offset:         44
        .size:           4
        .value_kind:     by_value
      - .offset:         48
        .size:           4
        .value_kind:     by_value
      - .offset:         52
        .size:           4
        .value_kind:     by_value
      - .offset:         56
        .size:           1
        .value_kind:     by_value
      - .actual_access:  read_only
        .address_space:  global
        .offset:         64
        .size:           8
        .value_kind:     global_buffer
    .group_segment_fixed_size: 512
    .kernarg_segment_align: 8
    .kernarg_segment_size: 72
    .language:       OpenCL C
    .language_version:
      - 2
      - 0
    .max_flat_workgroup_size: 1024
    .name:           _ZN4vllm4gptq33gemm_half_q_half_gptq_8bit_kernelILb1ELi2EEEvPK6__halfPKjS6_S4_PS2_iiiibPKi
    .private_segment_fixed_size: 0
    .sgpr_count:     34
    .sgpr_spill_count: 0
    .symbol:         _ZN4vllm4gptq33gemm_half_q_half_gptq_8bit_kernelILb1ELi2EEEvPK6__halfPKjS6_S4_PS2_iiiibPKi.kd
    .uniform_work_group_size: 1
    .uses_dynamic_stack: false
    .vgpr_count:     78
    .vgpr_spill_count: 0
    .wavefront_size: 64
  - .agpr_count:     0
    .args:
      - .actual_access:  read_only
        .address_space:  global
        .offset:         0
        .size:           8
        .value_kind:     global_buffer
      - .actual_access:  read_only
        .address_space:  global
        .offset:         8
        .size:           8
        .value_kind:     global_buffer
      - .actual_access:  read_only
        .address_space:  global
        .offset:         16
        .size:           8
        .value_kind:     global_buffer
      - .actual_access:  read_only
        .address_space:  global
        .offset:         24
        .size:           8
        .value_kind:     global_buffer
      - .address_space:  global
        .offset:         32
        .size:           8
        .value_kind:     global_buffer
      - .offset:         40
        .size:           4
        .value_kind:     by_value
      - .offset:         44
        .size:           4
        .value_kind:     by_value
      - .offset:         48
        .size:           4
        .value_kind:     by_value
      - .offset:         52
        .size:           4
        .value_kind:     by_value
      - .offset:         56
        .size:           1
        .value_kind:     by_value
      - .actual_access:  read_only
        .address_space:  global
        .offset:         64
        .size:           8
        .value_kind:     global_buffer
    .group_segment_fixed_size: 768
    .kernarg_segment_align: 8
    .kernarg_segment_size: 72
    .language:       OpenCL C
    .language_version:
      - 2
      - 0
    .max_flat_workgroup_size: 1024
    .name:           _ZN4vllm4gptq33gemm_half_q_half_gptq_2bit_kernelILb1ELi3EEEvPK6__halfPKjS6_S4_PS2_iiiibPKi
    .private_segment_fixed_size: 0
    .sgpr_count:     32
    .sgpr_spill_count: 0
    .symbol:         _ZN4vllm4gptq33gemm_half_q_half_gptq_2bit_kernelILb1ELi3EEEvPK6__halfPKjS6_S4_PS2_iiiibPKi.kd
    .uniform_work_group_size: 1
    .uses_dynamic_stack: false
    .vgpr_count:     66
    .vgpr_spill_count: 0
    .wavefront_size: 64
  - .agpr_count:     0
    .args:
      - .actual_access:  read_only
        .address_space:  global
        .offset:         0
        .size:           8
        .value_kind:     global_buffer
      - .actual_access:  read_only
        .address_space:  global
        .offset:         8
        .size:           8
        .value_kind:     global_buffer
      - .actual_access:  read_only
        .address_space:  global
        .offset:         16
        .size:           8
        .value_kind:     global_buffer
      - .actual_access:  read_only
        .address_space:  global
        .offset:         24
        .size:           8
        .value_kind:     global_buffer
      - .address_space:  global
        .offset:         32
        .size:           8
        .value_kind:     global_buffer
      - .offset:         40
        .size:           4
        .value_kind:     by_value
      - .offset:         44
        .size:           4
        .value_kind:     by_value
      - .offset:         48
        .size:           4
        .value_kind:     by_value
      - .offset:         52
        .size:           4
        .value_kind:     by_value
      - .offset:         56
        .size:           1
        .value_kind:     by_value
      - .actual_access:  read_only
        .address_space:  global
        .offset:         64
        .size:           8
        .value_kind:     global_buffer
    .group_segment_fixed_size: 768
    .kernarg_segment_align: 8
    .kernarg_segment_size: 72
    .language:       OpenCL C
    .language_version:
      - 2
      - 0
    .max_flat_workgroup_size: 1024
    .name:           _ZN4vllm4gptq33gemm_half_q_half_gptq_3bit_kernelILb1ELi3EEEvPK6__halfPKjS6_S4_PS2_iiiibPKi
    .private_segment_fixed_size: 0
    .sgpr_count:     46
    .sgpr_spill_count: 0
    .symbol:         _ZN4vllm4gptq33gemm_half_q_half_gptq_3bit_kernelILb1ELi3EEEvPK6__halfPKjS6_S4_PS2_iiiibPKi.kd
    .uniform_work_group_size: 1
    .uses_dynamic_stack: false
    .vgpr_count:     112
    .vgpr_spill_count: 0
    .wavefront_size: 64
  - .agpr_count:     0
    .args:
      - .actual_access:  read_only
        .address_space:  global
        .offset:         0
        .size:           8
        .value_kind:     global_buffer
      - .actual_access:  read_only
        .address_space:  global
        .offset:         8
        .size:           8
        .value_kind:     global_buffer
      - .actual_access:  read_only
        .address_space:  global
        .offset:         16
        .size:           8
        .value_kind:     global_buffer
      - .actual_access:  read_only
        .address_space:  global
        .offset:         24
        .size:           8
        .value_kind:     global_buffer
      - .address_space:  global
        .offset:         32
        .size:           8
        .value_kind:     global_buffer
      - .offset:         40
        .size:           4
        .value_kind:     by_value
      - .offset:         44
        .size:           4
        .value_kind:     by_value
      - .offset:         48
        .size:           4
        .value_kind:     by_value
      - .offset:         52
        .size:           4
        .value_kind:     by_value
      - .offset:         56
        .size:           1
        .value_kind:     by_value
      - .actual_access:  read_only
        .address_space:  global
        .offset:         64
        .size:           8
        .value_kind:     global_buffer
    .group_segment_fixed_size: 768
    .kernarg_segment_align: 8
    .kernarg_segment_size: 72
    .language:       OpenCL C
    .language_version:
      - 2
      - 0
    .max_flat_workgroup_size: 1024
    .name:           _ZN4vllm4gptq33gemm_half_q_half_gptq_4bit_kernelILb1ELi3EEEvPK6__halfPKjS6_S4_PS2_iiiibPKi
    .private_segment_fixed_size: 0
    .sgpr_count:     33
    .sgpr_spill_count: 0
    .symbol:         _ZN4vllm4gptq33gemm_half_q_half_gptq_4bit_kernelILb1ELi3EEEvPK6__halfPKjS6_S4_PS2_iiiibPKi.kd
    .uniform_work_group_size: 1
    .uses_dynamic_stack: false
    .vgpr_count:     66
    .vgpr_spill_count: 0
    .wavefront_size: 64
  - .agpr_count:     0
    .args:
      - .actual_access:  read_only
        .address_space:  global
        .offset:         0
        .size:           8
        .value_kind:     global_buffer
      - .actual_access:  read_only
        .address_space:  global
        .offset:         8
        .size:           8
        .value_kind:     global_buffer
      - .actual_access:  read_only
        .address_space:  global
        .offset:         16
        .size:           8
        .value_kind:     global_buffer
      - .actual_access:  read_only
        .address_space:  global
        .offset:         24
        .size:           8
        .value_kind:     global_buffer
      - .address_space:  global
        .offset:         32
        .size:           8
        .value_kind:     global_buffer
      - .offset:         40
        .size:           4
        .value_kind:     by_value
      - .offset:         44
        .size:           4
        .value_kind:     by_value
      - .offset:         48
        .size:           4
        .value_kind:     by_value
      - .offset:         52
        .size:           4
        .value_kind:     by_value
      - .offset:         56
        .size:           1
        .value_kind:     by_value
      - .actual_access:  read_only
        .address_space:  global
        .offset:         64
        .size:           8
        .value_kind:     global_buffer
    .group_segment_fixed_size: 768
    .kernarg_segment_align: 8
    .kernarg_segment_size: 72
    .language:       OpenCL C
    .language_version:
      - 2
      - 0
    .max_flat_workgroup_size: 1024
    .name:           _ZN4vllm4gptq33gemm_half_q_half_gptq_8bit_kernelILb1ELi3EEEvPK6__halfPKjS6_S4_PS2_iiiibPKi
    .private_segment_fixed_size: 0
    .sgpr_count:     33
    .sgpr_spill_count: 0
    .symbol:         _ZN4vllm4gptq33gemm_half_q_half_gptq_8bit_kernelILb1ELi3EEEvPK6__halfPKjS6_S4_PS2_iiiibPKi.kd
    .uniform_work_group_size: 1
    .uses_dynamic_stack: false
    .vgpr_count:     92
    .vgpr_spill_count: 0
    .wavefront_size: 64
  - .agpr_count:     0
    .args:
      - .actual_access:  read_only
        .address_space:  global
        .offset:         0
        .size:           8
        .value_kind:     global_buffer
      - .actual_access:  read_only
        .address_space:  global
        .offset:         8
        .size:           8
        .value_kind:     global_buffer
      - .actual_access:  read_only
        .address_space:  global
        .offset:         16
        .size:           8
        .value_kind:     global_buffer
      - .actual_access:  read_only
        .address_space:  global
        .offset:         24
        .size:           8
        .value_kind:     global_buffer
      - .address_space:  global
        .offset:         32
        .size:           8
        .value_kind:     global_buffer
      - .offset:         40
        .size:           4
        .value_kind:     by_value
      - .offset:         44
        .size:           4
        .value_kind:     by_value
      - .offset:         48
        .size:           4
        .value_kind:     by_value
      - .offset:         52
        .size:           4
        .value_kind:     by_value
      - .offset:         56
        .size:           1
        .value_kind:     by_value
      - .actual_access:  read_only
        .address_space:  global
        .offset:         64
        .size:           8
        .value_kind:     global_buffer
    .group_segment_fixed_size: 1024
    .kernarg_segment_align: 8
    .kernarg_segment_size: 72
    .language:       OpenCL C
    .language_version:
      - 2
      - 0
    .max_flat_workgroup_size: 1024
    .name:           _ZN4vllm4gptq33gemm_half_q_half_gptq_2bit_kernelILb1ELi4EEEvPK6__halfPKjS6_S4_PS2_iiiibPKi
    .private_segment_fixed_size: 0
    .sgpr_count:     32
    .sgpr_spill_count: 0
    .symbol:         _ZN4vllm4gptq33gemm_half_q_half_gptq_2bit_kernelILb1ELi4EEEvPK6__halfPKjS6_S4_PS2_iiiibPKi.kd
    .uniform_work_group_size: 1
    .uses_dynamic_stack: false
    .vgpr_count:     72
    .vgpr_spill_count: 0
    .wavefront_size: 64
  - .agpr_count:     0
    .args:
      - .actual_access:  read_only
        .address_space:  global
        .offset:         0
        .size:           8
        .value_kind:     global_buffer
      - .actual_access:  read_only
        .address_space:  global
        .offset:         8
        .size:           8
        .value_kind:     global_buffer
      - .actual_access:  read_only
        .address_space:  global
        .offset:         16
        .size:           8
        .value_kind:     global_buffer
      - .actual_access:  read_only
        .address_space:  global
        .offset:         24
        .size:           8
        .value_kind:     global_buffer
      - .address_space:  global
        .offset:         32
        .size:           8
        .value_kind:     global_buffer
      - .offset:         40
        .size:           4
        .value_kind:     by_value
      - .offset:         44
        .size:           4
        .value_kind:     by_value
      - .offset:         48
        .size:           4
        .value_kind:     by_value
      - .offset:         52
        .size:           4
        .value_kind:     by_value
      - .offset:         56
        .size:           1
        .value_kind:     by_value
      - .actual_access:  read_only
        .address_space:  global
        .offset:         64
        .size:           8
        .value_kind:     global_buffer
    .group_segment_fixed_size: 1024
    .kernarg_segment_align: 8
    .kernarg_segment_size: 72
    .language:       OpenCL C
    .language_version:
      - 2
      - 0
    .max_flat_workgroup_size: 1024
    .name:           _ZN4vllm4gptq33gemm_half_q_half_gptq_3bit_kernelILb1ELi4EEEvPK6__halfPKjS6_S4_PS2_iiiibPKi
    .private_segment_fixed_size: 0
    .sgpr_count:     46
    .sgpr_spill_count: 0
    .symbol:         _ZN4vllm4gptq33gemm_half_q_half_gptq_3bit_kernelILb1ELi4EEEvPK6__halfPKjS6_S4_PS2_iiiibPKi.kd
    .uniform_work_group_size: 1
    .uses_dynamic_stack: false
    .vgpr_count:     114
    .vgpr_spill_count: 0
    .wavefront_size: 64
  - .agpr_count:     0
    .args:
      - .actual_access:  read_only
        .address_space:  global
        .offset:         0
        .size:           8
        .value_kind:     global_buffer
      - .actual_access:  read_only
        .address_space:  global
        .offset:         8
        .size:           8
        .value_kind:     global_buffer
      - .actual_access:  read_only
        .address_space:  global
        .offset:         16
        .size:           8
        .value_kind:     global_buffer
      - .actual_access:  read_only
        .address_space:  global
        .offset:         24
        .size:           8
        .value_kind:     global_buffer
      - .address_space:  global
        .offset:         32
        .size:           8
        .value_kind:     global_buffer
      - .offset:         40
        .size:           4
        .value_kind:     by_value
      - .offset:         44
        .size:           4
        .value_kind:     by_value
      - .offset:         48
        .size:           4
        .value_kind:     by_value
      - .offset:         52
        .size:           4
        .value_kind:     by_value
      - .offset:         56
        .size:           1
        .value_kind:     by_value
      - .actual_access:  read_only
        .address_space:  global
        .offset:         64
        .size:           8
        .value_kind:     global_buffer
    .group_segment_fixed_size: 1024
    .kernarg_segment_align: 8
    .kernarg_segment_size: 72
    .language:       OpenCL C
    .language_version:
      - 2
      - 0
    .max_flat_workgroup_size: 1024
    .name:           _ZN4vllm4gptq33gemm_half_q_half_gptq_4bit_kernelILb1ELi4EEEvPK6__halfPKjS6_S4_PS2_iiiibPKi
    .private_segment_fixed_size: 0
    .sgpr_count:     33
    .sgpr_spill_count: 0
    .symbol:         _ZN4vllm4gptq33gemm_half_q_half_gptq_4bit_kernelILb1ELi4EEEvPK6__halfPKjS6_S4_PS2_iiiibPKi.kd
    .uniform_work_group_size: 1
    .uses_dynamic_stack: false
    .vgpr_count:     70
    .vgpr_spill_count: 0
    .wavefront_size: 64
  - .agpr_count:     0
    .args:
      - .actual_access:  read_only
        .address_space:  global
        .offset:         0
        .size:           8
        .value_kind:     global_buffer
      - .actual_access:  read_only
        .address_space:  global
        .offset:         8
        .size:           8
        .value_kind:     global_buffer
      - .actual_access:  read_only
        .address_space:  global
        .offset:         16
        .size:           8
        .value_kind:     global_buffer
      - .actual_access:  read_only
        .address_space:  global
        .offset:         24
        .size:           8
        .value_kind:     global_buffer
      - .address_space:  global
        .offset:         32
        .size:           8
        .value_kind:     global_buffer
      - .offset:         40
        .size:           4
        .value_kind:     by_value
      - .offset:         44
        .size:           4
        .value_kind:     by_value
      - .offset:         48
        .size:           4
        .value_kind:     by_value
      - .offset:         52
        .size:           4
        .value_kind:     by_value
      - .offset:         56
        .size:           1
        .value_kind:     by_value
      - .actual_access:  read_only
        .address_space:  global
        .offset:         64
        .size:           8
        .value_kind:     global_buffer
    .group_segment_fixed_size: 1024
    .kernarg_segment_align: 8
    .kernarg_segment_size: 72
    .language:       OpenCL C
    .language_version:
      - 2
      - 0
    .max_flat_workgroup_size: 1024
    .name:           _ZN4vllm4gptq33gemm_half_q_half_gptq_8bit_kernelILb1ELi4EEEvPK6__halfPKjS6_S4_PS2_iiiibPKi
    .private_segment_fixed_size: 0
    .sgpr_count:     33
    .sgpr_spill_count: 0
    .symbol:         _ZN4vllm4gptq33gemm_half_q_half_gptq_8bit_kernelILb1ELi4EEEvPK6__halfPKjS6_S4_PS2_iiiibPKi.kd
    .uniform_work_group_size: 1
    .uses_dynamic_stack: false
    .vgpr_count:     87
    .vgpr_spill_count: 0
    .wavefront_size: 64
  - .agpr_count:     0
    .args:
      - .actual_access:  read_only
        .address_space:  global
        .offset:         0
        .size:           8
        .value_kind:     global_buffer
      - .actual_access:  read_only
        .address_space:  global
        .offset:         8
        .size:           8
        .value_kind:     global_buffer
      - .actual_access:  read_only
        .address_space:  global
        .offset:         16
        .size:           8
        .value_kind:     global_buffer
      - .actual_access:  read_only
        .address_space:  global
        .offset:         24
        .size:           8
        .value_kind:     global_buffer
      - .address_space:  global
        .offset:         32
        .size:           8
        .value_kind:     global_buffer
      - .offset:         40
        .size:           4
        .value_kind:     by_value
      - .offset:         44
        .size:           4
        .value_kind:     by_value
      - .offset:         48
        .size:           4
        .value_kind:     by_value
      - .offset:         52
        .size:           4
        .value_kind:     by_value
      - .offset:         56
        .size:           1
        .value_kind:     by_value
      - .actual_access:  read_only
        .address_space:  global
        .offset:         64
        .size:           8
        .value_kind:     global_buffer
    .group_segment_fixed_size: 1280
    .kernarg_segment_align: 8
    .kernarg_segment_size: 72
    .language:       OpenCL C
    .language_version:
      - 2
      - 0
    .max_flat_workgroup_size: 1024
    .name:           _ZN4vllm4gptq33gemm_half_q_half_gptq_2bit_kernelILb1ELi5EEEvPK6__halfPKjS6_S4_PS2_iiiibPKi
    .private_segment_fixed_size: 0
    .sgpr_count:     32
    .sgpr_spill_count: 0
    .symbol:         _ZN4vllm4gptq33gemm_half_q_half_gptq_2bit_kernelILb1ELi5EEEvPK6__halfPKjS6_S4_PS2_iiiibPKi.kd
    .uniform_work_group_size: 1
    .uses_dynamic_stack: false
    .vgpr_count:     79
    .vgpr_spill_count: 0
    .wavefront_size: 64
  - .agpr_count:     0
    .args:
      - .actual_access:  read_only
        .address_space:  global
        .offset:         0
        .size:           8
        .value_kind:     global_buffer
      - .actual_access:  read_only
        .address_space:  global
        .offset:         8
        .size:           8
        .value_kind:     global_buffer
      - .actual_access:  read_only
        .address_space:  global
        .offset:         16
        .size:           8
        .value_kind:     global_buffer
      - .actual_access:  read_only
        .address_space:  global
        .offset:         24
        .size:           8
        .value_kind:     global_buffer
      - .address_space:  global
        .offset:         32
        .size:           8
        .value_kind:     global_buffer
      - .offset:         40
        .size:           4
        .value_kind:     by_value
      - .offset:         44
        .size:           4
        .value_kind:     by_value
      - .offset:         48
        .size:           4
        .value_kind:     by_value
      - .offset:         52
        .size:           4
        .value_kind:     by_value
      - .offset:         56
        .size:           1
        .value_kind:     by_value
      - .actual_access:  read_only
        .address_space:  global
        .offset:         64
        .size:           8
        .value_kind:     global_buffer
    .group_segment_fixed_size: 1280
    .kernarg_segment_align: 8
    .kernarg_segment_size: 72
    .language:       OpenCL C
    .language_version:
      - 2
      - 0
    .max_flat_workgroup_size: 1024
    .name:           _ZN4vllm4gptq33gemm_half_q_half_gptq_3bit_kernelILb1ELi5EEEvPK6__halfPKjS6_S4_PS2_iiiibPKi
    .private_segment_fixed_size: 0
    .sgpr_count:     46
    .sgpr_spill_count: 0
    .symbol:         _ZN4vllm4gptq33gemm_half_q_half_gptq_3bit_kernelILb1ELi5EEEvPK6__halfPKjS6_S4_PS2_iiiibPKi.kd
    .uniform_work_group_size: 1
    .uses_dynamic_stack: false
    .vgpr_count:     117
    .vgpr_spill_count: 0
    .wavefront_size: 64
  - .agpr_count:     0
    .args:
      - .actual_access:  read_only
        .address_space:  global
        .offset:         0
        .size:           8
        .value_kind:     global_buffer
      - .actual_access:  read_only
        .address_space:  global
        .offset:         8
        .size:           8
        .value_kind:     global_buffer
      - .actual_access:  read_only
        .address_space:  global
        .offset:         16
        .size:           8
        .value_kind:     global_buffer
      - .actual_access:  read_only
        .address_space:  global
        .offset:         24
        .size:           8
        .value_kind:     global_buffer
      - .address_space:  global
        .offset:         32
        .size:           8
        .value_kind:     global_buffer
      - .offset:         40
        .size:           4
        .value_kind:     by_value
      - .offset:         44
        .size:           4
        .value_kind:     by_value
      - .offset:         48
        .size:           4
        .value_kind:     by_value
      - .offset:         52
        .size:           4
        .value_kind:     by_value
      - .offset:         56
        .size:           1
        .value_kind:     by_value
      - .actual_access:  read_only
        .address_space:  global
        .offset:         64
        .size:           8
        .value_kind:     global_buffer
    .group_segment_fixed_size: 1280
    .kernarg_segment_align: 8
    .kernarg_segment_size: 72
    .language:       OpenCL C
    .language_version:
      - 2
      - 0
    .max_flat_workgroup_size: 1024
    .name:           _ZN4vllm4gptq33gemm_half_q_half_gptq_4bit_kernelILb1ELi5EEEvPK6__halfPKjS6_S4_PS2_iiiibPKi
    .private_segment_fixed_size: 0
    .sgpr_count:     33
    .sgpr_spill_count: 0
    .symbol:         _ZN4vllm4gptq33gemm_half_q_half_gptq_4bit_kernelILb1ELi5EEEvPK6__halfPKjS6_S4_PS2_iiiibPKi.kd
    .uniform_work_group_size: 1
    .uses_dynamic_stack: false
    .vgpr_count:     74
    .vgpr_spill_count: 0
    .wavefront_size: 64
  - .agpr_count:     0
    .args:
      - .actual_access:  read_only
        .address_space:  global
        .offset:         0
        .size:           8
        .value_kind:     global_buffer
      - .actual_access:  read_only
        .address_space:  global
        .offset:         8
        .size:           8
        .value_kind:     global_buffer
      - .actual_access:  read_only
        .address_space:  global
        .offset:         16
        .size:           8
        .value_kind:     global_buffer
      - .actual_access:  read_only
        .address_space:  global
        .offset:         24
        .size:           8
        .value_kind:     global_buffer
      - .address_space:  global
        .offset:         32
        .size:           8
        .value_kind:     global_buffer
      - .offset:         40
        .size:           4
        .value_kind:     by_value
      - .offset:         44
        .size:           4
        .value_kind:     by_value
      - .offset:         48
        .size:           4
        .value_kind:     by_value
      - .offset:         52
        .size:           4
        .value_kind:     by_value
      - .offset:         56
        .size:           1
        .value_kind:     by_value
      - .actual_access:  read_only
        .address_space:  global
        .offset:         64
        .size:           8
        .value_kind:     global_buffer
    .group_segment_fixed_size: 1280
    .kernarg_segment_align: 8
    .kernarg_segment_size: 72
    .language:       OpenCL C
    .language_version:
      - 2
      - 0
    .max_flat_workgroup_size: 1024
    .name:           _ZN4vllm4gptq33gemm_half_q_half_gptq_8bit_kernelILb1ELi5EEEvPK6__halfPKjS6_S4_PS2_iiiibPKi
    .private_segment_fixed_size: 0
    .sgpr_count:     33
    .sgpr_spill_count: 0
    .symbol:         _ZN4vllm4gptq33gemm_half_q_half_gptq_8bit_kernelILb1ELi5EEEvPK6__halfPKjS6_S4_PS2_iiiibPKi.kd
    .uniform_work_group_size: 1
    .uses_dynamic_stack: false
    .vgpr_count:     110
    .vgpr_spill_count: 0
    .wavefront_size: 64
  - .agpr_count:     0
    .args:
      - .actual_access:  read_only
        .address_space:  global
        .offset:         0
        .size:           8
        .value_kind:     global_buffer
      - .actual_access:  read_only
        .address_space:  global
        .offset:         8
        .size:           8
        .value_kind:     global_buffer
      - .actual_access:  read_only
        .address_space:  global
        .offset:         16
        .size:           8
        .value_kind:     global_buffer
      - .actual_access:  read_only
        .address_space:  global
        .offset:         24
        .size:           8
        .value_kind:     global_buffer
      - .address_space:  global
        .offset:         32
        .size:           8
        .value_kind:     global_buffer
      - .offset:         40
        .size:           4
        .value_kind:     by_value
      - .offset:         44
        .size:           4
        .value_kind:     by_value
      - .offset:         48
        .size:           4
        .value_kind:     by_value
      - .offset:         52
        .size:           4
        .value_kind:     by_value
      - .offset:         56
        .size:           1
        .value_kind:     by_value
      - .actual_access:  read_only
        .address_space:  global
        .offset:         64
        .size:           8
        .value_kind:     global_buffer
    .group_segment_fixed_size: 1536
    .kernarg_segment_align: 8
    .kernarg_segment_size: 72
    .language:       OpenCL C
    .language_version:
      - 2
      - 0
    .max_flat_workgroup_size: 1024
    .name:           _ZN4vllm4gptq33gemm_half_q_half_gptq_2bit_kernelILb1ELi6EEEvPK6__halfPKjS6_S4_PS2_iiiibPKi
    .private_segment_fixed_size: 0
    .sgpr_count:     32
    .sgpr_spill_count: 0
    .symbol:         _ZN4vllm4gptq33gemm_half_q_half_gptq_2bit_kernelILb1ELi6EEEvPK6__halfPKjS6_S4_PS2_iiiibPKi.kd
    .uniform_work_group_size: 1
    .uses_dynamic_stack: false
    .vgpr_count:     85
    .vgpr_spill_count: 0
    .wavefront_size: 64
  - .agpr_count:     0
    .args:
      - .actual_access:  read_only
        .address_space:  global
        .offset:         0
        .size:           8
        .value_kind:     global_buffer
      - .actual_access:  read_only
        .address_space:  global
        .offset:         8
        .size:           8
        .value_kind:     global_buffer
      - .actual_access:  read_only
        .address_space:  global
        .offset:         16
        .size:           8
        .value_kind:     global_buffer
      - .actual_access:  read_only
        .address_space:  global
        .offset:         24
        .size:           8
        .value_kind:     global_buffer
      - .address_space:  global
        .offset:         32
        .size:           8
        .value_kind:     global_buffer
      - .offset:         40
        .size:           4
        .value_kind:     by_value
      - .offset:         44
        .size:           4
        .value_kind:     by_value
      - .offset:         48
        .size:           4
        .value_kind:     by_value
      - .offset:         52
        .size:           4
        .value_kind:     by_value
      - .offset:         56
        .size:           1
        .value_kind:     by_value
      - .actual_access:  read_only
        .address_space:  global
        .offset:         64
        .size:           8
        .value_kind:     global_buffer
    .group_segment_fixed_size: 1536
    .kernarg_segment_align: 8
    .kernarg_segment_size: 72
    .language:       OpenCL C
    .language_version:
      - 2
      - 0
    .max_flat_workgroup_size: 1024
    .name:           _ZN4vllm4gptq33gemm_half_q_half_gptq_3bit_kernelILb1ELi6EEEvPK6__halfPKjS6_S4_PS2_iiiibPKi
    .private_segment_fixed_size: 0
    .sgpr_count:     46
    .sgpr_spill_count: 0
    .symbol:         _ZN4vllm4gptq33gemm_half_q_half_gptq_3bit_kernelILb1ELi6EEEvPK6__halfPKjS6_S4_PS2_iiiibPKi.kd
    .uniform_work_group_size: 1
    .uses_dynamic_stack: false
    .vgpr_count:     121
    .vgpr_spill_count: 0
    .wavefront_size: 64
  - .agpr_count:     0
    .args:
      - .actual_access:  read_only
        .address_space:  global
        .offset:         0
        .size:           8
        .value_kind:     global_buffer
      - .actual_access:  read_only
        .address_space:  global
        .offset:         8
        .size:           8
        .value_kind:     global_buffer
      - .actual_access:  read_only
        .address_space:  global
        .offset:         16
        .size:           8
        .value_kind:     global_buffer
      - .actual_access:  read_only
        .address_space:  global
        .offset:         24
        .size:           8
        .value_kind:     global_buffer
      - .address_space:  global
        .offset:         32
        .size:           8
        .value_kind:     global_buffer
      - .offset:         40
        .size:           4
        .value_kind:     by_value
      - .offset:         44
        .size:           4
        .value_kind:     by_value
      - .offset:         48
        .size:           4
        .value_kind:     by_value
      - .offset:         52
        .size:           4
        .value_kind:     by_value
      - .offset:         56
        .size:           1
        .value_kind:     by_value
      - .actual_access:  read_only
        .address_space:  global
        .offset:         64
        .size:           8
        .value_kind:     global_buffer
    .group_segment_fixed_size: 1536
    .kernarg_segment_align: 8
    .kernarg_segment_size: 72
    .language:       OpenCL C
    .language_version:
      - 2
      - 0
    .max_flat_workgroup_size: 1024
    .name:           _ZN4vllm4gptq33gemm_half_q_half_gptq_4bit_kernelILb1ELi6EEEvPK6__halfPKjS6_S4_PS2_iiiibPKi
    .private_segment_fixed_size: 0
    .sgpr_count:     33
    .sgpr_spill_count: 0
    .symbol:         _ZN4vllm4gptq33gemm_half_q_half_gptq_4bit_kernelILb1ELi6EEEvPK6__halfPKjS6_S4_PS2_iiiibPKi.kd
    .uniform_work_group_size: 1
    .uses_dynamic_stack: false
    .vgpr_count:     78
    .vgpr_spill_count: 0
    .wavefront_size: 64
  - .agpr_count:     0
    .args:
      - .actual_access:  read_only
        .address_space:  global
        .offset:         0
        .size:           8
        .value_kind:     global_buffer
      - .actual_access:  read_only
        .address_space:  global
        .offset:         8
        .size:           8
        .value_kind:     global_buffer
      - .actual_access:  read_only
        .address_space:  global
        .offset:         16
        .size:           8
        .value_kind:     global_buffer
      - .actual_access:  read_only
        .address_space:  global
        .offset:         24
        .size:           8
        .value_kind:     global_buffer
      - .address_space:  global
        .offset:         32
        .size:           8
        .value_kind:     global_buffer
      - .offset:         40
        .size:           4
        .value_kind:     by_value
      - .offset:         44
        .size:           4
        .value_kind:     by_value
      - .offset:         48
        .size:           4
        .value_kind:     by_value
      - .offset:         52
        .size:           4
        .value_kind:     by_value
      - .offset:         56
        .size:           1
        .value_kind:     by_value
      - .actual_access:  read_only
        .address_space:  global
        .offset:         64
        .size:           8
        .value_kind:     global_buffer
    .group_segment_fixed_size: 1536
    .kernarg_segment_align: 8
    .kernarg_segment_size: 72
    .language:       OpenCL C
    .language_version:
      - 2
      - 0
    .max_flat_workgroup_size: 1024
    .name:           _ZN4vllm4gptq33gemm_half_q_half_gptq_8bit_kernelILb1ELi6EEEvPK6__halfPKjS6_S4_PS2_iiiibPKi
    .private_segment_fixed_size: 0
    .sgpr_count:     32
    .sgpr_spill_count: 0
    .symbol:         _ZN4vllm4gptq33gemm_half_q_half_gptq_8bit_kernelILb1ELi6EEEvPK6__halfPKjS6_S4_PS2_iiiibPKi.kd
    .uniform_work_group_size: 1
    .uses_dynamic_stack: false
    .vgpr_count:     98
    .vgpr_spill_count: 0
    .wavefront_size: 64
  - .agpr_count:     0
    .args:
      - .actual_access:  read_only
        .address_space:  global
        .offset:         0
        .size:           8
        .value_kind:     global_buffer
      - .actual_access:  read_only
        .address_space:  global
        .offset:         8
        .size:           8
        .value_kind:     global_buffer
      - .actual_access:  read_only
        .address_space:  global
        .offset:         16
        .size:           8
        .value_kind:     global_buffer
      - .actual_access:  read_only
        .address_space:  global
        .offset:         24
        .size:           8
        .value_kind:     global_buffer
      - .address_space:  global
        .offset:         32
        .size:           8
        .value_kind:     global_buffer
      - .offset:         40
        .size:           4
        .value_kind:     by_value
      - .offset:         44
        .size:           4
        .value_kind:     by_value
      - .offset:         48
        .size:           4
        .value_kind:     by_value
      - .offset:         52
        .size:           4
        .value_kind:     by_value
      - .offset:         56
        .size:           1
        .value_kind:     by_value
      - .actual_access:  read_only
        .address_space:  global
        .offset:         64
        .size:           8
        .value_kind:     global_buffer
    .group_segment_fixed_size: 1792
    .kernarg_segment_align: 8
    .kernarg_segment_size: 72
    .language:       OpenCL C
    .language_version:
      - 2
      - 0
    .max_flat_workgroup_size: 1024
    .name:           _ZN4vllm4gptq33gemm_half_q_half_gptq_2bit_kernelILb1ELi7EEEvPK6__halfPKjS6_S4_PS2_iiiibPKi
    .private_segment_fixed_size: 0
    .sgpr_count:     32
    .sgpr_spill_count: 0
    .symbol:         _ZN4vllm4gptq33gemm_half_q_half_gptq_2bit_kernelILb1ELi7EEEvPK6__halfPKjS6_S4_PS2_iiiibPKi.kd
    .uniform_work_group_size: 1
    .uses_dynamic_stack: false
    .vgpr_count:     91
    .vgpr_spill_count: 0
    .wavefront_size: 64
  - .agpr_count:     0
    .args:
      - .actual_access:  read_only
        .address_space:  global
        .offset:         0
        .size:           8
        .value_kind:     global_buffer
      - .actual_access:  read_only
        .address_space:  global
        .offset:         8
        .size:           8
        .value_kind:     global_buffer
      - .actual_access:  read_only
        .address_space:  global
        .offset:         16
        .size:           8
        .value_kind:     global_buffer
      - .actual_access:  read_only
        .address_space:  global
        .offset:         24
        .size:           8
        .value_kind:     global_buffer
      - .address_space:  global
        .offset:         32
        .size:           8
        .value_kind:     global_buffer
      - .offset:         40
        .size:           4
        .value_kind:     by_value
      - .offset:         44
        .size:           4
        .value_kind:     by_value
      - .offset:         48
        .size:           4
        .value_kind:     by_value
      - .offset:         52
        .size:           4
        .value_kind:     by_value
      - .offset:         56
        .size:           1
        .value_kind:     by_value
      - .actual_access:  read_only
        .address_space:  global
        .offset:         64
        .size:           8
        .value_kind:     global_buffer
    .group_segment_fixed_size: 1792
    .kernarg_segment_align: 8
    .kernarg_segment_size: 72
    .language:       OpenCL C
    .language_version:
      - 2
      - 0
    .max_flat_workgroup_size: 1024
    .name:           _ZN4vllm4gptq33gemm_half_q_half_gptq_3bit_kernelILb1ELi7EEEvPK6__halfPKjS6_S4_PS2_iiiibPKi
    .private_segment_fixed_size: 32
    .sgpr_count:     46
    .sgpr_spill_count: 0
    .symbol:         _ZN4vllm4gptq33gemm_half_q_half_gptq_3bit_kernelILb1ELi7EEEvPK6__halfPKjS6_S4_PS2_iiiibPKi.kd
    .uniform_work_group_size: 1
    .uses_dynamic_stack: false
    .vgpr_count:     128
    .vgpr_spill_count: 9
    .wavefront_size: 64
  - .agpr_count:     0
    .args:
      - .actual_access:  read_only
        .address_space:  global
        .offset:         0
        .size:           8
        .value_kind:     global_buffer
      - .actual_access:  read_only
        .address_space:  global
        .offset:         8
        .size:           8
        .value_kind:     global_buffer
      - .actual_access:  read_only
        .address_space:  global
        .offset:         16
        .size:           8
        .value_kind:     global_buffer
      - .actual_access:  read_only
        .address_space:  global
        .offset:         24
        .size:           8
        .value_kind:     global_buffer
      - .address_space:  global
        .offset:         32
        .size:           8
        .value_kind:     global_buffer
      - .offset:         40
        .size:           4
        .value_kind:     by_value
      - .offset:         44
        .size:           4
        .value_kind:     by_value
      - .offset:         48
        .size:           4
        .value_kind:     by_value
      - .offset:         52
        .size:           4
        .value_kind:     by_value
      - .offset:         56
        .size:           1
        .value_kind:     by_value
      - .actual_access:  read_only
        .address_space:  global
        .offset:         64
        .size:           8
        .value_kind:     global_buffer
    .group_segment_fixed_size: 1792
    .kernarg_segment_align: 8
    .kernarg_segment_size: 72
    .language:       OpenCL C
    .language_version:
      - 2
      - 0
    .max_flat_workgroup_size: 1024
    .name:           _ZN4vllm4gptq33gemm_half_q_half_gptq_4bit_kernelILb1ELi7EEEvPK6__halfPKjS6_S4_PS2_iiiibPKi
    .private_segment_fixed_size: 0
    .sgpr_count:     33
    .sgpr_spill_count: 0
    .symbol:         _ZN4vllm4gptq33gemm_half_q_half_gptq_4bit_kernelILb1ELi7EEEvPK6__halfPKjS6_S4_PS2_iiiibPKi.kd
    .uniform_work_group_size: 1
    .uses_dynamic_stack: false
    .vgpr_count:     82
    .vgpr_spill_count: 0
    .wavefront_size: 64
  - .agpr_count:     0
    .args:
      - .actual_access:  read_only
        .address_space:  global
        .offset:         0
        .size:           8
        .value_kind:     global_buffer
      - .actual_access:  read_only
        .address_space:  global
        .offset:         8
        .size:           8
        .value_kind:     global_buffer
      - .actual_access:  read_only
        .address_space:  global
        .offset:         16
        .size:           8
        .value_kind:     global_buffer
      - .actual_access:  read_only
        .address_space:  global
        .offset:         24
        .size:           8
        .value_kind:     global_buffer
      - .address_space:  global
        .offset:         32
        .size:           8
        .value_kind:     global_buffer
      - .offset:         40
        .size:           4
        .value_kind:     by_value
      - .offset:         44
        .size:           4
        .value_kind:     by_value
      - .offset:         48
        .size:           4
        .value_kind:     by_value
      - .offset:         52
        .size:           4
        .value_kind:     by_value
      - .offset:         56
        .size:           1
        .value_kind:     by_value
      - .actual_access:  read_only
        .address_space:  global
        .offset:         64
        .size:           8
        .value_kind:     global_buffer
    .group_segment_fixed_size: 1792
    .kernarg_segment_align: 8
    .kernarg_segment_size: 72
    .language:       OpenCL C
    .language_version:
      - 2
      - 0
    .max_flat_workgroup_size: 1024
    .name:           _ZN4vllm4gptq33gemm_half_q_half_gptq_8bit_kernelILb1ELi7EEEvPK6__halfPKjS6_S4_PS2_iiiibPKi
    .private_segment_fixed_size: 0
    .sgpr_count:     32
    .sgpr_spill_count: 0
    .symbol:         _ZN4vllm4gptq33gemm_half_q_half_gptq_8bit_kernelILb1ELi7EEEvPK6__halfPKjS6_S4_PS2_iiiibPKi.kd
    .uniform_work_group_size: 1
    .uses_dynamic_stack: false
    .vgpr_count:     104
    .vgpr_spill_count: 0
    .wavefront_size: 64
  - .agpr_count:     0
    .args:
      - .actual_access:  read_only
        .address_space:  global
        .offset:         0
        .size:           8
        .value_kind:     global_buffer
      - .actual_access:  read_only
        .address_space:  global
        .offset:         8
        .size:           8
        .value_kind:     global_buffer
      - .actual_access:  read_only
        .address_space:  global
        .offset:         16
        .size:           8
        .value_kind:     global_buffer
      - .actual_access:  read_only
        .address_space:  global
        .offset:         24
        .size:           8
        .value_kind:     global_buffer
      - .address_space:  global
        .offset:         32
        .size:           8
        .value_kind:     global_buffer
      - .offset:         40
        .size:           4
        .value_kind:     by_value
      - .offset:         44
        .size:           4
        .value_kind:     by_value
      - .offset:         48
        .size:           4
        .value_kind:     by_value
      - .offset:         52
        .size:           4
        .value_kind:     by_value
      - .offset:         56
        .size:           1
        .value_kind:     by_value
      - .actual_access:  read_only
        .address_space:  global
        .offset:         64
        .size:           8
        .value_kind:     global_buffer
    .group_segment_fixed_size: 2048
    .kernarg_segment_align: 8
    .kernarg_segment_size: 72
    .language:       OpenCL C
    .language_version:
      - 2
      - 0
    .max_flat_workgroup_size: 1024
    .name:           _ZN4vllm4gptq33gemm_half_q_half_gptq_2bit_kernelILb1ELi8EEEvPK6__halfPKjS6_S4_PS2_iiiibPKi
    .private_segment_fixed_size: 0
    .sgpr_count:     32
    .sgpr_spill_count: 0
    .symbol:         _ZN4vllm4gptq33gemm_half_q_half_gptq_2bit_kernelILb1ELi8EEEvPK6__halfPKjS6_S4_PS2_iiiibPKi.kd
    .uniform_work_group_size: 1
    .uses_dynamic_stack: false
    .vgpr_count:     95
    .vgpr_spill_count: 0
    .wavefront_size: 64
  - .agpr_count:     0
    .args:
      - .actual_access:  read_only
        .address_space:  global
        .offset:         0
        .size:           8
        .value_kind:     global_buffer
      - .actual_access:  read_only
        .address_space:  global
        .offset:         8
        .size:           8
        .value_kind:     global_buffer
      - .actual_access:  read_only
        .address_space:  global
        .offset:         16
        .size:           8
        .value_kind:     global_buffer
      - .actual_access:  read_only
        .address_space:  global
        .offset:         24
        .size:           8
        .value_kind:     global_buffer
      - .address_space:  global
        .offset:         32
        .size:           8
        .value_kind:     global_buffer
      - .offset:         40
        .size:           4
        .value_kind:     by_value
      - .offset:         44
        .size:           4
        .value_kind:     by_value
      - .offset:         48
        .size:           4
        .value_kind:     by_value
      - .offset:         52
        .size:           4
        .value_kind:     by_value
      - .offset:         56
        .size:           1
        .value_kind:     by_value
      - .actual_access:  read_only
        .address_space:  global
        .offset:         64
        .size:           8
        .value_kind:     global_buffer
    .group_segment_fixed_size: 2048
    .kernarg_segment_align: 8
    .kernarg_segment_size: 72
    .language:       OpenCL C
    .language_version:
      - 2
      - 0
    .max_flat_workgroup_size: 1024
    .name:           _ZN4vllm4gptq33gemm_half_q_half_gptq_3bit_kernelILb1ELi8EEEvPK6__halfPKjS6_S4_PS2_iiiibPKi
    .private_segment_fixed_size: 48
    .sgpr_count:     46
    .sgpr_spill_count: 0
    .symbol:         _ZN4vllm4gptq33gemm_half_q_half_gptq_3bit_kernelILb1ELi8EEEvPK6__halfPKjS6_S4_PS2_iiiibPKi.kd
    .uniform_work_group_size: 1
    .uses_dynamic_stack: false
    .vgpr_count:     128
    .vgpr_spill_count: 17
    .wavefront_size: 64
  - .agpr_count:     0
    .args:
      - .actual_access:  read_only
        .address_space:  global
        .offset:         0
        .size:           8
        .value_kind:     global_buffer
      - .actual_access:  read_only
        .address_space:  global
        .offset:         8
        .size:           8
        .value_kind:     global_buffer
      - .actual_access:  read_only
        .address_space:  global
        .offset:         16
        .size:           8
        .value_kind:     global_buffer
      - .actual_access:  read_only
        .address_space:  global
        .offset:         24
        .size:           8
        .value_kind:     global_buffer
      - .address_space:  global
        .offset:         32
        .size:           8
        .value_kind:     global_buffer
      - .offset:         40
        .size:           4
        .value_kind:     by_value
      - .offset:         44
        .size:           4
        .value_kind:     by_value
      - .offset:         48
        .size:           4
        .value_kind:     by_value
      - .offset:         52
        .size:           4
        .value_kind:     by_value
      - .offset:         56
        .size:           1
        .value_kind:     by_value
      - .actual_access:  read_only
        .address_space:  global
        .offset:         64
        .size:           8
        .value_kind:     global_buffer
    .group_segment_fixed_size: 2048
    .kernarg_segment_align: 8
    .kernarg_segment_size: 72
    .language:       OpenCL C
    .language_version:
      - 2
      - 0
    .max_flat_workgroup_size: 1024
    .name:           _ZN4vllm4gptq33gemm_half_q_half_gptq_4bit_kernelILb1ELi8EEEvPK6__halfPKjS6_S4_PS2_iiiibPKi
    .private_segment_fixed_size: 0
    .sgpr_count:     33
    .sgpr_spill_count: 0
    .symbol:         _ZN4vllm4gptq33gemm_half_q_half_gptq_4bit_kernelILb1ELi8EEEvPK6__halfPKjS6_S4_PS2_iiiibPKi.kd
    .uniform_work_group_size: 1
    .uses_dynamic_stack: false
    .vgpr_count:     86
    .vgpr_spill_count: 0
    .wavefront_size: 64
  - .agpr_count:     0
    .args:
      - .actual_access:  read_only
        .address_space:  global
        .offset:         0
        .size:           8
        .value_kind:     global_buffer
      - .actual_access:  read_only
        .address_space:  global
        .offset:         8
        .size:           8
        .value_kind:     global_buffer
      - .actual_access:  read_only
        .address_space:  global
        .offset:         16
        .size:           8
        .value_kind:     global_buffer
      - .actual_access:  read_only
        .address_space:  global
        .offset:         24
        .size:           8
        .value_kind:     global_buffer
      - .address_space:  global
        .offset:         32
        .size:           8
        .value_kind:     global_buffer
      - .offset:         40
        .size:           4
        .value_kind:     by_value
      - .offset:         44
        .size:           4
        .value_kind:     by_value
      - .offset:         48
        .size:           4
        .value_kind:     by_value
      - .offset:         52
        .size:           4
        .value_kind:     by_value
      - .offset:         56
        .size:           1
        .value_kind:     by_value
      - .actual_access:  read_only
        .address_space:  global
        .offset:         64
        .size:           8
        .value_kind:     global_buffer
    .group_segment_fixed_size: 2048
    .kernarg_segment_align: 8
    .kernarg_segment_size: 72
    .language:       OpenCL C
    .language_version:
      - 2
      - 0
    .max_flat_workgroup_size: 1024
    .name:           _ZN4vllm4gptq33gemm_half_q_half_gptq_8bit_kernelILb1ELi8EEEvPK6__halfPKjS6_S4_PS2_iiiibPKi
    .private_segment_fixed_size: 0
    .sgpr_count:     32
    .sgpr_spill_count: 0
    .symbol:         _ZN4vllm4gptq33gemm_half_q_half_gptq_8bit_kernelILb1ELi8EEEvPK6__halfPKjS6_S4_PS2_iiiibPKi.kd
    .uniform_work_group_size: 1
    .uses_dynamic_stack: false
    .vgpr_count:     109
    .vgpr_spill_count: 0
    .wavefront_size: 64
  - .agpr_count:     0
    .args:
      - .actual_access:  read_only
        .address_space:  global
        .offset:         0
        .size:           8
        .value_kind:     global_buffer
      - .actual_access:  read_only
        .address_space:  global
        .offset:         8
        .size:           8
        .value_kind:     global_buffer
      - .actual_access:  read_only
        .address_space:  global
        .offset:         16
        .size:           8
        .value_kind:     global_buffer
      - .actual_access:  read_only
        .address_space:  global
        .offset:         24
        .size:           8
        .value_kind:     global_buffer
      - .offset:         32
        .size:           4
        .value_kind:     by_value
      - .offset:         36
        .size:           4
        .value_kind:     by_value
      - .offset:         40
        .size:           4
        .value_kind:     by_value
      - .offset:         44
        .size:           1
        .value_kind:     by_value
      - .actual_access:  write_only
        .address_space:  global
        .offset:         48
        .size:           8
        .value_kind:     global_buffer
    .group_segment_fixed_size: 0
    .kernarg_segment_align: 8
    .kernarg_segment_size: 56
    .language:       OpenCL C
    .language_version:
      - 2
      - 0
    .max_flat_workgroup_size: 1024
    .name:           _ZN4vllm4gptq23reconstruct_gptq_kernelINS0_17MatrixView_q4_rowELi4EEEvPKjPK6__halfS4_PKiiiibPS5_
    .private_segment_fixed_size: 0
    .sgpr_count:     30
    .sgpr_spill_count: 0
    .symbol:         _ZN4vllm4gptq23reconstruct_gptq_kernelINS0_17MatrixView_q4_rowELi4EEEvPKjPK6__halfS4_PKiiiibPS5_.kd
    .uniform_work_group_size: 1
    .uses_dynamic_stack: false
    .vgpr_count:     23
    .vgpr_spill_count: 0
    .wavefront_size: 64
  - .agpr_count:     0
    .args:
      - .actual_access:  read_only
        .address_space:  global
        .offset:         0
        .size:           8
        .value_kind:     global_buffer
      - .actual_access:  read_only
        .address_space:  global
        .offset:         8
        .size:           8
        .value_kind:     global_buffer
      - .actual_access:  read_only
        .address_space:  global
        .offset:         16
        .size:           8
        .value_kind:     global_buffer
      - .actual_access:  read_only
        .address_space:  global
        .offset:         24
        .size:           8
        .value_kind:     global_buffer
      - .offset:         32
        .size:           4
        .value_kind:     by_value
      - .offset:         36
        .size:           4
        .value_kind:     by_value
      - .offset:         40
        .size:           4
        .value_kind:     by_value
      - .offset:         44
        .size:           1
        .value_kind:     by_value
      - .actual_access:  write_only
        .address_space:  global
        .offset:         48
        .size:           8
        .value_kind:     global_buffer
    .group_segment_fixed_size: 0
    .kernarg_segment_align: 8
    .kernarg_segment_size: 56
    .language:       OpenCL C
    .language_version:
      - 2
      - 0
    .max_flat_workgroup_size: 1024
    .name:           _ZN4vllm4gptq23reconstruct_gptq_kernelINS0_17MatrixView_q2_rowELi2EEEvPKjPK6__halfS4_PKiiiibPS5_
    .private_segment_fixed_size: 0
    .sgpr_count:     38
    .sgpr_spill_count: 0
    .symbol:         _ZN4vllm4gptq23reconstruct_gptq_kernelINS0_17MatrixView_q2_rowELi2EEEvPKjPK6__halfS4_PKiiiibPS5_.kd
    .uniform_work_group_size: 1
    .uses_dynamic_stack: false
    .vgpr_count:     29
    .vgpr_spill_count: 0
    .wavefront_size: 64
  - .agpr_count:     0
    .args:
      - .actual_access:  read_only
        .address_space:  global
        .offset:         0
        .size:           8
        .value_kind:     global_buffer
      - .actual_access:  read_only
        .address_space:  global
        .offset:         8
        .size:           8
        .value_kind:     global_buffer
      - .actual_access:  read_only
        .address_space:  global
        .offset:         16
        .size:           8
        .value_kind:     global_buffer
      - .actual_access:  read_only
        .address_space:  global
        .offset:         24
        .size:           8
        .value_kind:     global_buffer
      - .offset:         32
        .size:           4
        .value_kind:     by_value
      - .offset:         36
        .size:           4
        .value_kind:     by_value
      - .offset:         40
        .size:           4
        .value_kind:     by_value
      - .offset:         44
        .size:           1
        .value_kind:     by_value
      - .actual_access:  write_only
        .address_space:  global
        .offset:         48
        .size:           8
        .value_kind:     global_buffer
    .group_segment_fixed_size: 0
    .kernarg_segment_align: 8
    .kernarg_segment_size: 56
    .language:       OpenCL C
    .language_version:
      - 2
      - 0
    .max_flat_workgroup_size: 1024
    .name:           _ZN4vllm4gptq23reconstruct_gptq_kernelINS0_17MatrixView_q8_rowELi8EEEvPKjPK6__halfS4_PKiiiibPS5_
    .private_segment_fixed_size: 0
    .sgpr_count:     27
    .sgpr_spill_count: 0
    .symbol:         _ZN4vllm4gptq23reconstruct_gptq_kernelINS0_17MatrixView_q8_rowELi8EEEvPKjPK6__halfS4_PKiiiibPS5_.kd
    .uniform_work_group_size: 1
    .uses_dynamic_stack: false
    .vgpr_count:     22
    .vgpr_spill_count: 0
    .wavefront_size: 64
amdhsa.target:   amdgcn-amd-amdhsa--gfx950
amdhsa.version:
  - 1
  - 2
...

	.end_amdgpu_metadata
